;; amdgpu-corpus repo=ROCm/rocFFT kind=compiled arch=gfx1201 opt=O3
	.text
	.amdgcn_target "amdgcn-amd-amdhsa--gfx1201"
	.amdhsa_code_object_version 6
	.protected	bluestein_single_back_len1056_dim1_dp_op_CI_CI ; -- Begin function bluestein_single_back_len1056_dim1_dp_op_CI_CI
	.globl	bluestein_single_back_len1056_dim1_dp_op_CI_CI
	.p2align	8
	.type	bluestein_single_back_len1056_dim1_dp_op_CI_CI,@function
bluestein_single_back_len1056_dim1_dp_op_CI_CI: ; @bluestein_single_back_len1056_dim1_dp_op_CI_CI
; %bb.0:
	s_load_b128 s[8:11], s[0:1], 0x28
	v_mul_u32_u24_e32 v1, 0x175, v0
	s_mov_b32 s2, exec_lo
	v_mov_b32_e32 v5, 0
	s_delay_alu instid0(VALU_DEP_2) | instskip(NEXT) | instid1(VALU_DEP_1)
	v_lshrrev_b32_e32 v1, 16, v1
	v_add_nc_u32_e32 v4, ttmp9, v1
	s_wait_kmcnt 0x0
	s_delay_alu instid0(VALU_DEP_1)
	v_cmpx_gt_u64_e64 s[8:9], v[4:5]
	s_cbranch_execz .LBB0_10
; %bb.1:
	s_load_b128 s[4:7], s[0:1], 0x18
	v_mul_lo_u16 v1, 0xb0, v1
                                        ; implicit-def: $vgpr80_vgpr81
                                        ; implicit-def: $vgpr84_vgpr85
                                        ; implicit-def: $vgpr88_vgpr89
	s_delay_alu instid0(VALU_DEP_1) | instskip(NEXT) | instid1(VALU_DEP_1)
	v_sub_nc_u16 v28, v0, v1
	v_and_b32_e32 v255, 0xffff, v28
	s_delay_alu instid0(VALU_DEP_1)
	v_dual_mov_b32 v5, v4 :: v_dual_lshlrev_b32 v128, 4, v255
	scratch_store_b64 off, v[5:6], off      ; 8-byte Folded Spill
	s_wait_kmcnt 0x0
	s_load_b128 s[12:15], s[4:5], 0x0
	s_wait_kmcnt 0x0
	v_mad_co_u64_u32 v[0:1], null, s14, v4, 0
	v_mad_co_u64_u32 v[2:3], null, s12, v255, 0
	s_mul_i32 s4, s13, 0xffffea00
	s_mul_u64 s[2:3], s[12:13], 0x2100
	s_sub_co_i32 s4, s4, s12
	s_delay_alu instid0(VALU_DEP_1) | instskip(NEXT) | instid1(VALU_DEP_1)
	v_mad_co_u64_u32 v[4:5], null, s15, v4, v[1:2]
	v_mad_co_u64_u32 v[5:6], null, s13, v255, v[3:4]
	v_mov_b32_e32 v1, v4
	s_delay_alu instid0(VALU_DEP_1) | instskip(NEXT) | instid1(VALU_DEP_3)
	v_lshlrev_b64_e32 v[0:1], 4, v[0:1]
	v_mov_b32_e32 v3, v5
	s_delay_alu instid0(VALU_DEP_2) | instskip(NEXT) | instid1(VALU_DEP_2)
	v_add_co_u32 v0, vcc_lo, s10, v0
	v_lshlrev_b64_e32 v[2:3], 4, v[2:3]
	s_delay_alu instid0(VALU_DEP_4) | instskip(SKIP_3) | instid1(VALU_DEP_2)
	v_add_co_ci_u32_e32 v1, vcc_lo, s11, v1, vcc_lo
	s_clause 0x1
	s_load_b128 s[8:11], s[0:1], 0x0
	s_load_b64 s[0:1], s[0:1], 0x38
	v_add_co_u32 v16, vcc_lo, v0, v2
	s_wait_alu 0xfffd
	v_add_co_ci_u32_e32 v17, vcc_lo, v1, v3, vcc_lo
	s_delay_alu instid0(VALU_DEP_2) | instskip(SKIP_1) | instid1(VALU_DEP_2)
	v_add_co_u32 v18, vcc_lo, v16, s2
	s_wait_alu 0xfffd
	v_add_co_ci_u32_e32 v19, vcc_lo, s3, v17, vcc_lo
	s_wait_kmcnt 0x0
	s_clause 0x3
	global_load_b128 v[4:7], v128, s[8:9] offset:8448
	global_load_b128 v[12:15], v128, s[8:9]
	global_load_b128 v[8:11], v128, s[8:9] offset:2816
	global_load_b128 v[0:3], v128, s[8:9] offset:11264
	s_clause 0x1
	global_load_b128 v[24:27], v[16:17], off
	global_load_b128 v[29:32], v[18:19], off
	v_mad_co_u64_u32 v[20:21], null, 0xffffea00, s12, v[18:19]
	s_delay_alu instid0(VALU_DEP_1) | instskip(NEXT) | instid1(VALU_DEP_2)
	v_add_nc_u32_e32 v21, s4, v21
	v_add_co_u32 v22, vcc_lo, v20, s2
	s_wait_alu 0xfffd
	s_delay_alu instid0(VALU_DEP_2) | instskip(SKIP_2) | instid1(VALU_DEP_1)
	v_add_co_ci_u32_e32 v23, vcc_lo, s3, v21, vcc_lo
	global_load_b128 v[33:36], v[20:21], off
	v_mad_co_u64_u32 v[41:42], null, 0xffffea00, s12, v[22:23]
	v_add_nc_u32_e32 v42, s4, v42
	s_delay_alu instid0(VALU_DEP_2) | instskip(SKIP_2) | instid1(VALU_DEP_3)
	v_add_co_u32 v45, vcc_lo, v41, s2
	v_add_co_u32 v116, s2, s8, v128
	s_wait_alu 0xfffd
	v_add_co_ci_u32_e32 v46, vcc_lo, s3, v42, vcc_lo
	global_load_b128 v[37:40], v[22:23], off
	global_load_b128 v[16:19], v128, s[8:9] offset:5632
	global_load_b128 v[41:44], v[41:42], off
	global_load_b128 v[20:23], v128, s[8:9] offset:14080
	global_load_b128 v[45:48], v[45:46], off
	s_load_b128 s[4:7], s[6:7], 0x0
	v_cmp_gt_u16_e32 vcc_lo, 0x60, v28
	v_add_co_ci_u32_e64 v117, null, s9, 0, s2
	s_wait_loadcnt 0x7
	v_mul_f64_e32 v[49:50], v[26:27], v[14:15]
	v_mul_f64_e32 v[51:52], v[24:25], v[14:15]
	s_wait_loadcnt 0x6
	v_mul_f64_e32 v[53:54], v[31:32], v[6:7]
	v_mul_f64_e32 v[55:56], v[29:30], v[6:7]
	s_wait_loadcnt 0x5
	v_mul_f64_e32 v[57:58], v[35:36], v[10:11]
	v_mul_f64_e32 v[59:60], v[33:34], v[10:11]
	s_wait_loadcnt 0x4
	v_mul_f64_e32 v[61:62], v[39:40], v[2:3]
	v_mul_f64_e32 v[63:64], v[37:38], v[2:3]
	s_wait_loadcnt 0x2
	v_mul_f64_e32 v[65:66], v[43:44], v[18:19]
	v_mul_f64_e32 v[67:68], v[41:42], v[18:19]
	s_wait_loadcnt 0x0
	v_mul_f64_e32 v[69:70], v[47:48], v[22:23]
	v_mul_f64_e32 v[71:72], v[45:46], v[22:23]
	v_fma_f64 v[24:25], v[24:25], v[12:13], v[49:50]
	v_fma_f64 v[26:27], v[26:27], v[12:13], -v[51:52]
	v_fma_f64 v[29:30], v[29:30], v[4:5], v[53:54]
	v_fma_f64 v[31:32], v[31:32], v[4:5], -v[55:56]
	v_lshlrev_b32_e32 v56, 5, v255
	v_fma_f64 v[33:34], v[33:34], v[8:9], v[57:58]
	v_fma_f64 v[35:36], v[35:36], v[8:9], -v[59:60]
	v_and_b32_e32 v60, 1, v255
	s_delay_alu instid0(VALU_DEP_1)
	v_lshlrev_b32_e32 v53, 4, v60
	v_fma_f64 v[37:38], v[37:38], v[0:1], v[61:62]
	v_fma_f64 v[39:40], v[39:40], v[0:1], -v[63:64]
	v_fma_f64 v[41:42], v[41:42], v[16:17], v[65:66]
	v_fma_f64 v[43:44], v[43:44], v[16:17], -v[67:68]
	;; [unrolled: 2-line block ×3, first 2 shown]
	v_and_b32_e32 v64, 3, v255
	v_and_b32_e32 v72, 7, v255
	ds_store_b128 v128, v[24:27]
	ds_store_b128 v128, v[33:36] offset:2816
	ds_store_b128 v128, v[29:32] offset:8448
	;; [unrolled: 1-line block ×5, first 2 shown]
	global_wb scope:SCOPE_SE
	s_wait_storecnt_dscnt 0x0
	s_wait_kmcnt 0x0
	s_barrier_signal -1
	s_barrier_wait -1
	global_inv scope:SCOPE_SE
	ds_load_b128 v[24:27], v128 offset:8448
	ds_load_b128 v[29:32], v128
	ds_load_b128 v[33:36], v128 offset:2816
	ds_load_b128 v[37:40], v128 offset:11264
	;; [unrolled: 1-line block ×4, first 2 shown]
	global_wb scope:SCOPE_SE
	s_wait_dscnt 0x0
	s_barrier_signal -1
	s_barrier_wait -1
	global_inv scope:SCOPE_SE
	v_add_f64_e64 v[24:25], v[29:30], -v[24:25]
	v_add_f64_e64 v[26:27], v[31:32], -v[26:27]
	;; [unrolled: 1-line block ×6, first 2 shown]
	v_fma_f64 v[49:50], v[29:30], 2.0, -v[24:25]
	v_fma_f64 v[51:52], v[31:32], 2.0, -v[26:27]
	;; [unrolled: 1-line block ×6, first 2 shown]
	v_lshlrev_b32_e32 v29, 1, v255
	s_delay_alu instid0(VALU_DEP_1)
	v_add_nc_u32_e32 v30, 0x160, v29
	v_add_nc_u32_e32 v31, 0x2c0, v29
	v_lshlrev_b32_e32 v36, 4, v29
	v_and_or_b32 v28, 0x1f0, v29, v72
	ds_store_b128 v56, v[49:52]
	ds_store_b128 v56, v[24:27] offset:16
	ds_store_b128 v36, v[32:35] offset:5632
	v_lshlrev_b32_e32 v55, 4, v30
	v_lshlrev_b32_e32 v54, 4, v31
	scratch_store_b32 off, v55, off offset:12 ; 4-byte Folded Spill
	ds_store_b128 v55, v[37:40] offset:16
	ds_store_b128 v36, v[41:44] offset:11264
	scratch_store_b32 off, v54, off offset:8 ; 4-byte Folded Spill
	ds_store_b128 v54, v[45:48] offset:16
	global_wb scope:SCOPE_SE
	s_wait_storecnt_dscnt 0x0
	s_barrier_signal -1
	s_barrier_wait -1
	global_inv scope:SCOPE_SE
	global_load_b128 v[24:27], v53, s[10:11]
	ds_load_b128 v[32:35], v128 offset:8448
	ds_load_b128 v[36:39], v128 offset:11264
	;; [unrolled: 1-line block ×4, first 2 shown]
	s_wait_loadcnt_dscnt 0x3
	v_mul_f64_e32 v[48:49], v[34:35], v[26:27]
	v_mul_f64_e32 v[50:51], v[32:33], v[26:27]
	s_wait_dscnt 0x2
	v_mul_f64_e32 v[52:53], v[38:39], v[26:27]
	v_mul_f64_e32 v[54:55], v[36:37], v[26:27]
	s_wait_dscnt 0x1
	v_mul_f64_e32 v[56:57], v[42:43], v[26:27]
	v_mul_f64_e32 v[58:59], v[40:41], v[26:27]
	v_fma_f64 v[48:49], v[32:33], v[24:25], -v[48:49]
	v_fma_f64 v[50:51], v[34:35], v[24:25], v[50:51]
	v_fma_f64 v[52:53], v[36:37], v[24:25], -v[52:53]
	v_fma_f64 v[54:55], v[38:39], v[24:25], v[54:55]
	;; [unrolled: 2-line block ×3, first 2 shown]
	ds_load_b128 v[32:35], v128
	ds_load_b128 v[36:39], v128 offset:2816
	global_wb scope:SCOPE_SE
	s_wait_dscnt 0x0
	s_barrier_signal -1
	s_barrier_wait -1
	global_inv scope:SCOPE_SE
	v_add_f64_e64 v[40:41], v[32:33], -v[48:49]
	v_add_f64_e64 v[42:43], v[34:35], -v[50:51]
	;; [unrolled: 1-line block ×6, first 2 shown]
	v_and_or_b32 v56, 0x1fc, v29, v60
	v_and_or_b32 v57, 0x3fc, v30, v60
	;; [unrolled: 1-line block ×3, first 2 shown]
	v_lshlrev_b32_e32 v59, 4, v64
	s_delay_alu instid0(VALU_DEP_4) | instskip(NEXT) | instid1(VALU_DEP_4)
	v_lshlrev_b32_e32 v60, 4, v56
	v_lshlrev_b32_e32 v57, 4, v57
	s_delay_alu instid0(VALU_DEP_4)
	v_lshlrev_b32_e32 v56, 4, v58
	scratch_store_b32 off, v60, off offset:24 ; 4-byte Folded Spill
	v_fma_f64 v[32:33], v[32:33], 2.0, -v[40:41]
	v_fma_f64 v[34:35], v[34:35], 2.0, -v[42:43]
	;; [unrolled: 1-line block ×6, first 2 shown]
	ds_store_b128 v60, v[32:35]
	ds_store_b128 v60, v[40:43] offset:32
	ds_store_b128 v57, v[36:39]
	scratch_store_b32 off, v57, off offset:20 ; 4-byte Folded Spill
	ds_store_b128 v57, v[48:51] offset:32
	ds_store_b128 v56, v[44:47]
	scratch_store_b32 off, v56, off offset:16 ; 4-byte Folded Spill
	ds_store_b128 v56, v[52:55] offset:32
	global_wb scope:SCOPE_SE
	s_wait_storecnt_dscnt 0x0
	s_barrier_signal -1
	s_barrier_wait -1
	global_inv scope:SCOPE_SE
	global_load_b128 v[32:35], v59, s[10:11] offset:32
	ds_load_b128 v[36:39], v128 offset:8448
	ds_load_b128 v[40:43], v128 offset:11264
	;; [unrolled: 1-line block ×4, first 2 shown]
	s_wait_loadcnt_dscnt 0x3
	v_mul_f64_e32 v[52:53], v[38:39], v[34:35]
	v_mul_f64_e32 v[54:55], v[36:37], v[34:35]
	s_wait_dscnt 0x2
	v_mul_f64_e32 v[56:57], v[42:43], v[34:35]
	v_mul_f64_e32 v[58:59], v[40:41], v[34:35]
	s_wait_dscnt 0x1
	v_mul_f64_e32 v[60:61], v[46:47], v[34:35]
	v_mul_f64_e32 v[62:63], v[44:45], v[34:35]
	v_fma_f64 v[52:53], v[36:37], v[32:33], -v[52:53]
	v_fma_f64 v[54:55], v[38:39], v[32:33], v[54:55]
	v_fma_f64 v[56:57], v[40:41], v[32:33], -v[56:57]
	v_fma_f64 v[58:59], v[42:43], v[32:33], v[58:59]
	;; [unrolled: 2-line block ×3, first 2 shown]
	ds_load_b128 v[36:39], v128
	ds_load_b128 v[40:43], v128 offset:2816
	global_wb scope:SCOPE_SE
	s_wait_dscnt 0x0
	s_barrier_signal -1
	s_barrier_wait -1
	global_inv scope:SCOPE_SE
	v_add_f64_e64 v[44:45], v[36:37], -v[52:53]
	v_add_f64_e64 v[46:47], v[38:39], -v[54:55]
	;; [unrolled: 1-line block ×6, first 2 shown]
	v_and_or_b32 v60, 0x1f8, v29, v64
	v_and_or_b32 v61, 0x3f8, v30, v64
	;; [unrolled: 1-line block ×3, first 2 shown]
	v_lshlrev_b32_e32 v63, 4, v72
	v_and_or_b32 v29, 0x3f0, v30, v72
	v_lshlrev_b32_e32 v64, 4, v60
	v_lshlrev_b32_e32 v61, 4, v61
	;; [unrolled: 1-line block ×3, first 2 shown]
	v_and_or_b32 v30, 0x7f0, v31, v72
	v_lshlrev_b32_e32 v31, 4, v28
	scratch_store_b32 off, v64, off offset:48 ; 4-byte Folded Spill
	v_lshlrev_b32_e32 v29, 4, v29
                                        ; implicit-def: $vgpr72_vgpr73
	v_lshlrev_b32_e32 v28, 4, v30
	v_fma_f64 v[36:37], v[36:37], 2.0, -v[44:45]
	v_fma_f64 v[38:39], v[38:39], 2.0, -v[46:47]
	;; [unrolled: 1-line block ×6, first 2 shown]
	ds_store_b128 v64, v[36:39]
	ds_store_b128 v64, v[44:47] offset:64
	ds_store_b128 v61, v[40:43]
	scratch_store_b32 off, v61, off offset:44 ; 4-byte Folded Spill
	ds_store_b128 v61, v[52:55] offset:64
	ds_store_b128 v60, v[48:51]
	scratch_store_b32 off, v60, off offset:36 ; 4-byte Folded Spill
	ds_store_b128 v60, v[56:59] offset:64
	global_wb scope:SCOPE_SE
	s_wait_storecnt_dscnt 0x0
	s_barrier_signal -1
	s_barrier_wait -1
	global_inv scope:SCOPE_SE
	global_load_b128 v[36:39], v63, s[10:11] offset:96
	ds_load_b128 v[40:43], v128 offset:8448
	ds_load_b128 v[44:47], v128 offset:11264
	ds_load_b128 v[48:51], v128 offset:14080
	ds_load_b128 v[56:59], v128 offset:5632
	s_wait_loadcnt_dscnt 0x3
	v_mul_f64_e32 v[52:53], v[42:43], v[38:39]
	v_mul_f64_e32 v[54:55], v[40:41], v[38:39]
	s_wait_dscnt 0x2
	v_mul_f64_e32 v[60:61], v[46:47], v[38:39]
	v_mul_f64_e32 v[62:63], v[44:45], v[38:39]
	s_wait_dscnt 0x1
	v_mul_f64_e32 v[64:65], v[50:51], v[38:39]
	v_mul_f64_e32 v[66:67], v[48:49], v[38:39]
	v_fma_f64 v[52:53], v[40:41], v[36:37], -v[52:53]
	v_fma_f64 v[54:55], v[42:43], v[36:37], v[54:55]
	v_fma_f64 v[60:61], v[44:45], v[36:37], -v[60:61]
	v_fma_f64 v[62:63], v[46:47], v[36:37], v[62:63]
	;; [unrolled: 2-line block ×3, first 2 shown]
	ds_load_b128 v[40:43], v128
	ds_load_b128 v[48:51], v128 offset:2816
	global_wb scope:SCOPE_SE
	s_wait_dscnt 0x0
	s_barrier_signal -1
	s_barrier_wait -1
	global_inv scope:SCOPE_SE
	scratch_store_b32 off, v31, off offset:40 ; 4-byte Folded Spill
	v_add_f64_e64 v[44:45], v[40:41], -v[52:53]
	v_add_f64_e64 v[46:47], v[42:43], -v[54:55]
	;; [unrolled: 1-line block ×6, first 2 shown]
	v_fma_f64 v[76:77], v[40:41], 2.0, -v[44:45]
	v_fma_f64 v[78:79], v[42:43], 2.0, -v[46:47]
	;; [unrolled: 1-line block ×6, first 2 shown]
                                        ; implicit-def: $vgpr56_vgpr57
	ds_store_b128 v31, v[76:79]
	ds_store_b128 v31, v[44:47] offset:128
	ds_store_b128 v29, v[52:55]
	scratch_store_b32 off, v29, off offset:32 ; 4-byte Folded Spill
	ds_store_b128 v29, v[60:63] offset:128
	ds_store_b128 v28, v[64:67]
	scratch_store_b32 off, v28, off offset:28 ; 4-byte Folded Spill
	ds_store_b128 v28, v[68:71] offset:128
	global_wb scope:SCOPE_SE
	s_wait_storecnt_dscnt 0x0
	s_barrier_signal -1
	s_barrier_wait -1
	global_inv scope:SCOPE_SE
	s_and_saveexec_b32 s2, vcc_lo
	s_cbranch_execz .LBB0_3
; %bb.2:
	ds_load_b128 v[76:79], v128
	ds_load_b128 v[44:47], v128 offset:1536
	ds_load_b128 v[52:55], v128 offset:3072
	;; [unrolled: 1-line block ×10, first 2 shown]
.LBB0_3:
	s_wait_alu 0xfffe
	s_or_b32 exec_lo, exec_lo, s2
	v_and_b32_e32 v28, 15, v255
	s_mov_b32 s22, 0xf8bb580b
	s_mov_b32 s23, 0xbfe14ced
	;; [unrolled: 1-line block ×4, first 2 shown]
	v_mad_co_u64_u32 v[96:97], null, 0xa0, v28, s[10:11]
	s_mov_b32 s21, 0xbfed1bb4
	s_mov_b32 s20, 0x8eee2c13
	;; [unrolled: 1-line block ×6, first 2 shown]
	s_clause 0x1
	global_load_b128 v[28:31], v[96:97], off offset:224
	global_load_b128 v[40:43], v[96:97], off offset:240
	s_mov_b32 s14, 0x640f44db
	s_mov_b32 s15, 0xbfc2375f
	;; [unrolled: 1-line block ×16, first 2 shown]
	s_wait_loadcnt_dscnt 0x109
	v_mul_f64_e32 v[48:49], v[44:45], v[30:31]
	s_delay_alu instid0(VALU_DEP_1) | instskip(SKIP_1) | instid1(VALU_DEP_1)
	v_fma_f64 v[147:148], v[46:47], v[28:29], v[48:49]
	v_mul_f64_e32 v[46:47], v[46:47], v[30:31]
	v_fma_f64 v[149:150], v[44:45], v[28:29], -v[46:47]
	s_clause 0x1
	global_load_b128 v[44:47], v[96:97], off offset:368
	global_load_b128 v[48:51], v[96:97], off offset:352
	s_wait_loadcnt_dscnt 0x100
	v_mul_f64_e32 v[92:93], v[88:89], v[46:47]
	s_delay_alu instid0(VALU_DEP_1) | instskip(SKIP_1) | instid1(VALU_DEP_2)
	v_fma_f64 v[92:93], v[90:91], v[44:45], v[92:93]
	v_mul_f64_e32 v[90:91], v[90:91], v[46:47]
	v_add_f64_e64 v[112:113], v[147:148], -v[92:93]
	s_delay_alu instid0(VALU_DEP_2) | instskip(SKIP_2) | instid1(VALU_DEP_4)
	v_fma_f64 v[88:89], v[88:89], v[44:45], -v[90:91]
	v_mul_f64_e32 v[90:91], v[52:53], v[42:43]
	v_add_f64_e32 v[209:210], v[147:148], v[92:93]
	v_mul_f64_e32 v[177:178], s[22:23], v[112:113]
	s_delay_alu instid0(VALU_DEP_4) | instskip(NEXT) | instid1(VALU_DEP_4)
	v_add_f64_e32 v[179:180], v[149:150], v[88:89]
	v_fma_f64 v[118:119], v[54:55], v[40:41], v[90:91]
	v_mul_f64_e32 v[54:55], v[54:55], v[42:43]
	v_add_f64_e64 v[155:156], v[149:150], -v[88:89]
	v_mul_f64_e32 v[231:232], s[20:21], v[112:113]
	v_mul_f64_e32 v[243:244], s[24:25], v[112:113]
	s_delay_alu instid0(VALU_DEP_4)
	v_fma_f64 v[120:121], v[52:53], v[40:41], -v[54:55]
	s_wait_loadcnt 0x0
	v_mul_f64_e32 v[52:53], v[56:57], v[50:51]
	v_mul_f64_e32 v[205:206], s[22:23], v[155:156]
	;; [unrolled: 1-line block ×6, first 2 shown]
	v_fma_f64 v[90:91], v[58:59], v[48:49], v[52:53]
	v_mul_f64_e32 v[52:53], v[58:59], v[50:51]
	s_delay_alu instid0(VALU_DEP_2) | instskip(NEXT) | instid1(VALU_DEP_2)
	v_add_f64_e64 v[114:115], v[118:119], -v[90:91]
	v_fma_f64 v[94:95], v[56:57], v[48:49], -v[52:53]
	s_clause 0x1
	global_load_b128 v[52:55], v[96:97], off offset:256
	global_load_b128 v[56:59], v[96:97], off offset:272
	v_add_f64_e32 v[145:146], v[118:119], v[90:91]
	v_mul_f64_e32 v[175:176], s[26:27], v[114:115]
	v_add_f64_e32 v[141:142], v[120:121], v[94:95]
	v_add_f64_e64 v[233:234], v[120:121], -v[94:95]
	v_mul_f64_e32 v[189:190], s[30:31], v[114:115]
	v_mul_f64_e32 v[215:216], s[34:35], v[114:115]
	;; [unrolled: 1-line block ×3, first 2 shown]
	v_fma_f64 v[100:101], v[141:142], s[16:17], v[175:176]
	v_mul_f64_e32 v[183:184], s[26:27], v[233:234]
	v_fma_f64 v[104:105], v[141:142], s[18:19], v[189:190]
	v_mul_f64_e32 v[201:202], s[30:31], v[233:234]
	s_wait_alu 0xfffe
	v_fma_f64 v[110:111], v[141:142], s[14:15], v[215:216]
	v_mul_f64_e32 v[223:224], s[34:35], v[233:234]
	v_mul_f64_e32 v[253:254], s[36:37], v[233:234]
	v_fma_f64 v[102:103], v[145:146], s[16:17], -v[183:184]
	v_fma_f64 v[106:107], v[145:146], s[18:19], -v[201:202]
	s_delay_alu instid0(VALU_DEP_4) | instskip(SKIP_2) | instid1(VALU_DEP_1)
	v_fma_f64 v[151:152], v[145:146], s[14:15], -v[223:224]
	s_wait_loadcnt 0x1
	v_mul_f64_e32 v[98:99], v[62:63], v[54:55]
	v_fma_f64 v[122:123], v[60:61], v[52:53], -v[98:99]
	v_mul_f64_e32 v[60:61], v[60:61], v[54:55]
	s_delay_alu instid0(VALU_DEP_1) | instskip(SKIP_2) | instid1(VALU_DEP_1)
	v_fma_f64 v[124:125], v[62:63], v[52:53], v[60:61]
	s_wait_loadcnt 0x0
	v_mul_f64_e32 v[60:61], v[66:67], v[58:59]
	v_fma_f64 v[126:127], v[64:65], v[56:57], -v[60:61]
	v_mul_f64_e32 v[60:61], v[64:65], v[58:59]
	s_delay_alu instid0(VALU_DEP_1)
	v_fma_f64 v[129:130], v[66:67], v[56:57], v[60:61]
	s_clause 0x1
	global_load_b128 v[60:63], v[96:97], off offset:288
	global_load_b128 v[64:67], v[96:97], off offset:304
	s_wait_loadcnt 0x1
	v_mul_f64_e32 v[98:99], v[70:71], v[62:63]
	s_delay_alu instid0(VALU_DEP_1) | instskip(SKIP_1) | instid1(VALU_DEP_1)
	v_fma_f64 v[131:132], v[68:69], v[60:61], -v[98:99]
	v_mul_f64_e32 v[68:69], v[68:69], v[62:63]
	v_fma_f64 v[135:136], v[70:71], v[60:61], v[68:69]
	s_wait_loadcnt 0x0
	v_mul_f64_e32 v[68:69], v[74:75], v[66:67]
	s_delay_alu instid0(VALU_DEP_1) | instskip(SKIP_1) | instid1(VALU_DEP_2)
	v_fma_f64 v[133:134], v[72:73], v[64:65], -v[68:69]
	v_mul_f64_e32 v[68:69], v[72:73], v[66:67]
	v_add_f64_e32 v[169:170], v[131:132], v[133:134]
	s_delay_alu instid0(VALU_DEP_2)
	v_fma_f64 v[137:138], v[74:75], v[64:65], v[68:69]
	s_clause 0x1
	global_load_b128 v[68:71], v[96:97], off offset:320
	global_load_b128 v[72:75], v[96:97], off offset:336
	s_clause 0x1
	scratch_store_b64 off, v[88:89], off offset:60
	scratch_store_b64 off, v[90:91], off offset:68
	v_mul_f64_e32 v[88:89], s[20:21], v[233:234]
	scratch_store_b64 off, v[92:93], off offset:52 ; 8-byte Folded Spill
	v_add_f64_e64 v[90:91], v[131:132], -v[133:134]
	v_fma_f64 v[233:234], v[145:146], s[12:13], -v[253:254]
	v_add_f64_e32 v[173:174], v[135:136], v[137:138]
	scratch_store_b64 off, v[88:89], off offset:84 ; 8-byte Folded Spill
	v_fma_f64 v[98:99], v[145:146], s[2:3], -v[88:89]
	v_mul_f64_e32 v[171:172], s[28:29], v[90:91]
	v_mul_f64_e32 v[199:200], s[36:37], v[90:91]
	;; [unrolled: 1-line block ×3, first 2 shown]
	s_wait_loadcnt 0x1
	v_mul_f64_e32 v[96:97], v[82:83], v[70:71]
	s_delay_alu instid0(VALU_DEP_1)
	v_fma_f64 v[139:140], v[80:81], v[68:69], -v[96:97]
	v_mul_f64_e32 v[80:81], v[80:81], v[70:71]
	v_mul_f64_e32 v[96:97], s[20:21], v[114:115]
	s_mov_b32 s21, 0x3fed1bb4
	v_fma_f64 v[114:115], v[141:142], s[12:13], v[249:250]
	s_wait_alu 0xfffe
	v_mul_f64_e32 v[229:230], s[20:21], v[90:91]
	v_add_f64_e32 v[161:162], v[126:127], v[139:140]
	v_fma_f64 v[82:83], v[82:83], v[68:69], v[80:81]
	s_wait_loadcnt 0x0
	v_mul_f64_e32 v[80:81], v[86:87], v[74:75]
	scratch_store_b64 off, v[96:97], off offset:76 ; 8-byte Folded Spill
	v_fma_f64 v[96:97], v[141:142], s[2:3], v[96:97]
	v_add_f64_e64 v[92:93], v[126:127], -v[139:140]
	v_add_f64_e64 v[241:242], v[129:130], -v[82:83]
	v_fma_f64 v[80:81], v[84:85], v[72:73], -v[80:81]
	v_mul_f64_e32 v[84:85], v[84:85], v[74:75]
	v_add_f64_e32 v[165:166], v[129:130], v[82:83]
	v_mul_f64_e32 v[163:164], s[26:27], v[92:93]
	v_mul_f64_e32 v[193:194], s[34:35], v[92:93]
	;; [unrolled: 1-line block ×5, first 2 shown]
	v_add_f64_e32 v[153:154], v[122:123], v[80:81]
	v_fma_f64 v[84:85], v[86:87], v[72:73], v[84:85]
	v_fma_f64 v[86:87], v[179:180], s[12:13], v[177:178]
	v_add_f64_e64 v[239:240], v[122:123], -v[80:81]
	v_mul_f64_e32 v[185:186], s[34:35], v[241:242]
	v_mul_f64_e32 v[203:204], s[22:23], v[241:242]
	;; [unrolled: 1-line block ×3, first 2 shown]
	v_add_f64_e64 v[235:236], v[124:125], -v[84:85]
	v_add_f64_e32 v[86:87], v[76:77], v[86:87]
	v_add_f64_e32 v[157:158], v[124:125], v[84:85]
	v_mul_f64_e32 v[191:192], s[30:31], v[239:240]
	v_mul_f64_e32 v[207:208], s[20:21], v[239:240]
	;; [unrolled: 1-line block ×5, first 2 shown]
	v_add_f64_e32 v[86:87], v[96:97], v[86:87]
	v_fma_f64 v[96:97], v[209:210], s[12:13], -v[205:206]
	v_mul_f64_e32 v[181:182], s[30:31], v[235:236]
	v_mul_f64_e32 v[195:196], s[20:21], v[235:236]
	;; [unrolled: 1-line block ×5, first 2 shown]
	scratch_store_b64 off, v[88:89], off offset:92 ; 8-byte Folded Spill
	v_add_f64_e32 v[96:97], v[78:79], v[96:97]
	s_delay_alu instid0(VALU_DEP_1) | instskip(SKIP_4) | instid1(VALU_DEP_4)
	v_add_f64_e32 v[96:97], v[98:99], v[96:97]
	v_fma_f64 v[98:99], v[153:154], s[14:15], v[88:89]
	v_mul_f64_e32 v[88:89], s[24:25], v[239:240]
	v_mul_f64_e32 v[239:240], s[20:21], v[241:242]
	;; [unrolled: 1-line block ×3, first 2 shown]
	v_add_f64_e32 v[86:87], v[98:99], v[86:87]
	s_delay_alu instid0(VALU_DEP_4)
	v_fma_f64 v[98:99], v[157:158], s[14:15], -v[88:89]
	scratch_store_b64 off, v[88:89], off offset:100 ; 8-byte Folded Spill
	v_add_f64_e64 v[88:89], v[135:136], -v[137:138]
	v_fma_f64 v[92:93], v[165:166], s[2:3], -v[241:242]
	global_wb scope:SCOPE_SE
	s_wait_storecnt 0x0
	s_barrier_signal -1
	s_barrier_wait -1
	global_inv scope:SCOPE_SE
	v_add_f64_e32 v[96:97], v[98:99], v[96:97]
	v_fma_f64 v[98:99], v[161:162], s[16:17], v[159:160]
	v_mul_f64_e32 v[167:168], s[28:29], v[88:89]
	v_mul_f64_e32 v[187:188], s[36:37], v[88:89]
	;; [unrolled: 1-line block ×4, first 2 shown]
	v_add_f64_e32 v[86:87], v[98:99], v[86:87]
	v_fma_f64 v[98:99], v[165:166], s[16:17], -v[163:164]
	s_delay_alu instid0(VALU_DEP_1) | instskip(SKIP_1) | instid1(VALU_DEP_1)
	v_add_f64_e32 v[98:99], v[98:99], v[96:97]
	v_fma_f64 v[96:97], v[169:170], s[18:19], v[167:168]
	v_add_f64_e32 v[96:97], v[96:97], v[86:87]
	v_fma_f64 v[86:87], v[173:174], s[18:19], -v[171:172]
	s_delay_alu instid0(VALU_DEP_1) | instskip(SKIP_1) | instid1(VALU_DEP_1)
	v_add_f64_e32 v[98:99], v[86:87], v[98:99]
	v_fma_f64 v[86:87], v[179:180], s[2:3], v[231:232]
	v_add_f64_e32 v[86:87], v[76:77], v[86:87]
	s_delay_alu instid0(VALU_DEP_1) | instskip(SKIP_1) | instid1(VALU_DEP_1)
	v_add_f64_e32 v[86:87], v[100:101], v[86:87]
	v_fma_f64 v[100:101], v[209:210], s[2:3], -v[237:238]
	v_add_f64_e32 v[100:101], v[78:79], v[100:101]
	s_delay_alu instid0(VALU_DEP_1) | instskip(SKIP_1) | instid1(VALU_DEP_1)
	v_add_f64_e32 v[100:101], v[102:103], v[100:101]
	v_fma_f64 v[102:103], v[153:154], s[18:19], v[181:182]
	v_add_f64_e32 v[86:87], v[102:103], v[86:87]
	v_fma_f64 v[102:103], v[157:158], s[18:19], -v[191:192]
	s_delay_alu instid0(VALU_DEP_1) | instskip(SKIP_1) | instid1(VALU_DEP_1)
	v_add_f64_e32 v[100:101], v[102:103], v[100:101]
	v_fma_f64 v[102:103], v[161:162], s[14:15], v[185:186]
	v_add_f64_e32 v[86:87], v[102:103], v[86:87]
	v_fma_f64 v[102:103], v[165:166], s[14:15], -v[193:194]
	;; [unrolled: 5-line block ×3, first 2 shown]
	s_delay_alu instid0(VALU_DEP_1) | instskip(SKIP_1) | instid1(VALU_DEP_1)
	v_add_f64_e32 v[102:103], v[86:87], v[102:103]
	v_fma_f64 v[86:87], v[179:180], s[14:15], v[243:244]
	v_add_f64_e32 v[86:87], v[76:77], v[86:87]
	s_delay_alu instid0(VALU_DEP_1) | instskip(SKIP_1) | instid1(VALU_DEP_1)
	v_add_f64_e32 v[86:87], v[104:105], v[86:87]
	v_fma_f64 v[104:105], v[209:210], s[14:15], -v[245:246]
	v_add_f64_e32 v[104:105], v[78:79], v[104:105]
	s_delay_alu instid0(VALU_DEP_1) | instskip(SKIP_1) | instid1(VALU_DEP_1)
	v_add_f64_e32 v[104:105], v[106:107], v[104:105]
	v_fma_f64 v[106:107], v[153:154], s[2:3], v[195:196]
	v_add_f64_e32 v[86:87], v[106:107], v[86:87]
	v_fma_f64 v[106:107], v[157:158], s[2:3], -v[207:208]
	s_delay_alu instid0(VALU_DEP_1) | instskip(SKIP_1) | instid1(VALU_DEP_1)
	v_add_f64_e32 v[104:105], v[106:107], v[104:105]
	v_fma_f64 v[106:107], v[161:162], s[12:13], v[203:204]
	v_add_f64_e32 v[86:87], v[106:107], v[86:87]
	v_fma_f64 v[106:107], v[165:166], s[12:13], -v[211:212]
	;; [unrolled: 5-line block ×3, first 2 shown]
	s_delay_alu instid0(VALU_DEP_1) | instskip(SKIP_1) | instid1(VALU_DEP_1)
	v_add_f64_e32 v[106:107], v[86:87], v[106:107]
	v_mul_f64_e32 v[86:87], s[26:27], v[112:113]
	v_fma_f64 v[108:109], v[179:180], s[16:17], v[86:87]
	s_delay_alu instid0(VALU_DEP_1) | instskip(NEXT) | instid1(VALU_DEP_1)
	v_add_f64_e32 v[108:109], v[76:77], v[108:109]
	v_add_f64_e32 v[108:109], v[110:111], v[108:109]
	v_fma_f64 v[110:111], v[209:210], s[16:17], -v[143:144]
	s_delay_alu instid0(VALU_DEP_1) | instskip(NEXT) | instid1(VALU_DEP_1)
	v_add_f64_e32 v[110:111], v[78:79], v[110:111]
	v_add_f64_e32 v[110:111], v[151:152], v[110:111]
	v_fma_f64 v[151:152], v[153:154], s[12:13], v[217:218]
	s_delay_alu instid0(VALU_DEP_1) | instskip(SKIP_1) | instid1(VALU_DEP_1)
	v_add_f64_e32 v[108:109], v[151:152], v[108:109]
	v_fma_f64 v[151:152], v[157:158], s[12:13], -v[225:226]
	v_add_f64_e32 v[110:111], v[151:152], v[110:111]
	v_fma_f64 v[151:152], v[161:162], s[18:19], v[221:222]
	s_delay_alu instid0(VALU_DEP_1) | instskip(SKIP_1) | instid1(VALU_DEP_1)
	v_add_f64_e32 v[108:109], v[151:152], v[108:109]
	v_fma_f64 v[151:152], v[165:166], s[18:19], -v[227:228]
	;; [unrolled: 5-line block ×3, first 2 shown]
	v_add_f64_e32 v[110:111], v[151:152], v[110:111]
	v_mul_f64_e32 v[151:152], s[28:29], v[112:113]
	s_delay_alu instid0(VALU_DEP_1) | instskip(NEXT) | instid1(VALU_DEP_1)
	v_fma_f64 v[112:113], v[179:180], s[18:19], v[151:152]
	v_add_f64_e32 v[112:113], v[76:77], v[112:113]
	s_delay_alu instid0(VALU_DEP_1) | instskip(SKIP_1) | instid1(VALU_DEP_1)
	v_add_f64_e32 v[112:113], v[114:115], v[112:113]
	v_fma_f64 v[114:115], v[209:210], s[18:19], -v[155:156]
	v_add_f64_e32 v[114:115], v[78:79], v[114:115]
	s_delay_alu instid0(VALU_DEP_1) | instskip(SKIP_1) | instid1(VALU_DEP_1)
	v_add_f64_e32 v[114:115], v[233:234], v[114:115]
	v_fma_f64 v[233:234], v[153:154], s[16:17], v[247:248]
	v_add_f64_e32 v[112:113], v[233:234], v[112:113]
	v_fma_f64 v[233:234], v[157:158], s[16:17], -v[251:252]
	s_delay_alu instid0(VALU_DEP_1) | instskip(SKIP_1) | instid1(VALU_DEP_2)
	v_add_f64_e32 v[114:115], v[233:234], v[114:115]
	v_fma_f64 v[233:234], v[161:162], s[2:3], v[239:240]
	v_add_f64_e32 v[92:93], v[92:93], v[114:115]
	s_delay_alu instid0(VALU_DEP_2) | instskip(SKIP_1) | instid1(VALU_DEP_1)
	v_add_f64_e32 v[112:113], v[233:234], v[112:113]
	v_mul_f64_e32 v[233:234], s[24:25], v[88:89]
	v_fma_f64 v[88:89], v[169:170], s[14:15], v[233:234]
	s_delay_alu instid0(VALU_DEP_1) | instskip(SKIP_1) | instid1(VALU_DEP_1)
	v_add_f64_e32 v[112:113], v[88:89], v[112:113]
	v_fma_f64 v[88:89], v[173:174], s[14:15], -v[235:236]
	v_add_f64_e32 v[114:115], v[88:89], v[92:93]
	s_and_saveexec_b32 s20, vcc_lo
	s_cbranch_execz .LBB0_5
; %bb.4:
	v_mul_f64_e32 v[88:89], s[18:19], v[209:210]
	v_mul_f64_e32 v[92:93], s[16:17], v[209:210]
	;; [unrolled: 1-line block ×3, first 2 shown]
	s_delay_alu instid0(VALU_DEP_3) | instskip(NEXT) | instid1(VALU_DEP_3)
	v_add_f64_e32 v[88:89], v[155:156], v[88:89]
	v_add_f64_e32 v[92:93], v[143:144], v[92:93]
	v_mul_f64_e32 v[143:144], s[16:17], v[179:180]
	v_mul_f64_e32 v[155:156], s[2:3], v[179:180]
	v_add_f64_e64 v[90:91], v[90:91], -v[151:152]
	v_mul_f64_e32 v[151:152], s[2:3], v[209:210]
	v_add_f64_e32 v[88:89], v[78:79], v[88:89]
	v_add_f64_e32 v[92:93], v[78:79], v[92:93]
	v_add_f64_e64 v[86:87], v[143:144], -v[86:87]
	v_mul_f64_e32 v[143:144], s[14:15], v[209:210]
	v_add_f64_e64 v[155:156], v[155:156], -v[231:232]
	v_mul_f64_e32 v[231:232], s[14:15], v[179:180]
	v_mul_f64_e32 v[209:210], s[12:13], v[209:210]
	;; [unrolled: 1-line block ×3, first 2 shown]
	v_add_f64_e32 v[151:152], v[237:238], v[151:152]
	v_add_f64_e32 v[237:238], v[76:77], v[149:150]
	;; [unrolled: 1-line block ×3, first 2 shown]
	v_mul_f64_e32 v[149:150], s[16:17], v[153:154]
	v_add_f64_e32 v[86:87], v[76:77], v[86:87]
	v_add_f64_e32 v[143:144], v[245:246], v[143:144]
	;; [unrolled: 1-line block ×3, first 2 shown]
	v_add_f64_e64 v[231:232], v[231:232], -v[243:244]
	v_add_f64_e32 v[205:206], v[205:206], v[209:210]
	v_add_f64_e64 v[177:178], v[179:180], -v[177:178]
	v_add_f64_e32 v[209:210], v[78:79], v[147:148]
	v_add_f64_e32 v[151:152], v[78:79], v[151:152]
	v_mul_f64_e32 v[147:148], s[16:17], v[157:158]
	v_add_f64_e64 v[149:150], v[149:150], -v[247:248]
	v_add_f64_e32 v[143:144], v[78:79], v[143:144]
	v_add_f64_e32 v[179:180], v[76:77], v[231:232]
	;; [unrolled: 1-line block ×4, first 2 shown]
	v_mul_f64_e32 v[76:77], s[12:13], v[145:146]
	v_mul_f64_e32 v[78:79], s[12:13], v[141:142]
	;; [unrolled: 1-line block ×3, first 2 shown]
	v_add_f64_e32 v[147:148], v[251:252], v[147:148]
	s_delay_alu instid0(VALU_DEP_4) | instskip(NEXT) | instid1(VALU_DEP_4)
	v_add_f64_e32 v[76:77], v[253:254], v[76:77]
	v_add_f64_e64 v[78:79], v[78:79], -v[249:250]
	s_delay_alu instid0(VALU_DEP_4) | instskip(SKIP_1) | instid1(VALU_DEP_4)
	v_add_f64_e32 v[177:178], v[241:242], v[177:178]
	v_mul_f64_e32 v[241:242], s[2:3], v[161:162]
	v_add_f64_e32 v[76:77], v[76:77], v[88:89]
	s_delay_alu instid0(VALU_DEP_4) | instskip(SKIP_1) | instid1(VALU_DEP_4)
	v_add_f64_e32 v[78:79], v[78:79], v[90:91]
	v_mul_f64_e32 v[88:89], s[14:15], v[173:174]
	v_add_f64_e64 v[239:240], v[241:242], -v[239:240]
	v_mul_f64_e32 v[90:91], s[14:15], v[169:170]
	v_add_f64_e32 v[76:77], v[147:148], v[76:77]
	v_add_f64_e32 v[78:79], v[149:150], v[78:79]
	;; [unrolled: 1-line block ×3, first 2 shown]
	v_mul_f64_e32 v[149:150], s[12:13], v[153:154]
	v_add_f64_e64 v[90:91], v[90:91], -v[233:234]
	v_add_f64_e32 v[76:77], v[177:178], v[76:77]
	v_add_f64_e32 v[147:148], v[239:240], v[78:79]
	v_mul_f64_e32 v[177:178], s[18:19], v[165:166]
	v_add_f64_e64 v[149:150], v[149:150], -v[217:218]
	s_delay_alu instid0(VALU_DEP_4) | instskip(NEXT) | instid1(VALU_DEP_4)
	v_add_f64_e32 v[78:79], v[88:89], v[76:77]
	v_add_f64_e32 v[76:77], v[90:91], v[147:148]
	v_mul_f64_e32 v[88:89], s[14:15], v[145:146]
	v_mul_f64_e32 v[90:91], s[14:15], v[141:142]
	;; [unrolled: 1-line block ×3, first 2 shown]
	v_add_f64_e32 v[177:178], v[227:228], v[177:178]
	s_delay_alu instid0(VALU_DEP_4) | instskip(NEXT) | instid1(VALU_DEP_4)
	v_add_f64_e32 v[88:89], v[223:224], v[88:89]
	v_add_f64_e64 v[90:91], v[90:91], -v[215:216]
	s_delay_alu instid0(VALU_DEP_4) | instskip(SKIP_1) | instid1(VALU_DEP_4)
	v_add_f64_e32 v[147:148], v[225:226], v[147:148]
	v_mul_f64_e32 v[215:216], s[18:19], v[161:162]
	v_add_f64_e32 v[88:89], v[88:89], v[92:93]
	s_delay_alu instid0(VALU_DEP_4) | instskip(SKIP_1) | instid1(VALU_DEP_4)
	v_add_f64_e32 v[86:87], v[90:91], v[86:87]
	v_mul_f64_e32 v[90:91], s[2:3], v[173:174]
	v_add_f64_e64 v[215:216], v[215:216], -v[221:222]
	v_mul_f64_e32 v[92:93], s[2:3], v[169:170]
	v_add_f64_e32 v[88:89], v[147:148], v[88:89]
	v_add_f64_e32 v[86:87], v[149:150], v[86:87]
	v_add_f64_e32 v[90:91], v[229:230], v[90:91]
	s_delay_alu instid0(VALU_DEP_4) | instskip(NEXT) | instid1(VALU_DEP_4)
	v_add_f64_e64 v[92:93], v[92:93], -v[219:220]
	v_add_f64_e32 v[88:89], v[177:178], v[88:89]
	s_delay_alu instid0(VALU_DEP_4) | instskip(SKIP_1) | instid1(VALU_DEP_3)
	v_add_f64_e32 v[86:87], v[215:216], v[86:87]
	v_mul_f64_e32 v[177:178], s[14:15], v[161:162]
	v_add_f64_e32 v[149:150], v[90:91], v[88:89]
	s_delay_alu instid0(VALU_DEP_3)
	v_add_f64_e32 v[147:148], v[92:93], v[86:87]
	v_mul_f64_e32 v[86:87], s[16:17], v[145:146]
	v_mul_f64_e32 v[88:89], s[16:17], v[141:142]
	;; [unrolled: 1-line block ×4, first 2 shown]
	v_add_f64_e64 v[177:178], v[177:178], -v[185:186]
	v_add_f64_e32 v[86:87], v[183:184], v[86:87]
	v_add_f64_e64 v[88:89], v[88:89], -v[175:176]
	v_add_f64_e32 v[90:91], v[191:192], v[90:91]
	v_add_f64_e64 v[92:93], v[92:93], -v[181:182]
	v_mul_f64_e32 v[175:176], s[14:15], v[165:166]
	v_add_f64_e32 v[86:87], v[86:87], v[151:152]
	v_add_f64_e32 v[88:89], v[88:89], v[155:156]
	v_mul_f64_e32 v[151:152], s[12:13], v[173:174]
	v_mul_f64_e32 v[155:156], s[12:13], v[161:162]
	v_add_f64_e32 v[175:176], v[193:194], v[175:176]
	v_add_f64_e32 v[86:87], v[90:91], v[86:87]
	;; [unrolled: 1-line block ×3, first 2 shown]
	v_mul_f64_e32 v[90:91], s[12:13], v[169:170]
	v_add_f64_e32 v[151:152], v[199:200], v[151:152]
	v_mul_f64_e32 v[92:93], s[2:3], v[153:154]
	v_add_f64_e64 v[155:156], v[155:156], -v[203:204]
	v_add_f64_e32 v[86:87], v[175:176], v[86:87]
	v_add_f64_e32 v[88:89], v[177:178], v[88:89]
	v_add_f64_e64 v[90:91], v[90:91], -v[187:188]
	v_add_f64_e64 v[92:93], v[92:93], -v[195:196]
	s_delay_alu instid0(VALU_DEP_4) | instskip(SKIP_1) | instid1(VALU_DEP_4)
	v_add_f64_e32 v[177:178], v[151:152], v[86:87]
	v_mul_f64_e32 v[86:87], s[18:19], v[145:146]
	v_add_f64_e32 v[175:176], v[90:91], v[88:89]
	v_mul_f64_e32 v[88:89], s[18:19], v[141:142]
	v_mul_f64_e32 v[90:91], s[2:3], v[157:158]
	;; [unrolled: 1-line block ×3, first 2 shown]
	v_add_f64_e32 v[86:87], v[201:202], v[86:87]
	s_delay_alu instid0(VALU_DEP_4) | instskip(NEXT) | instid1(VALU_DEP_4)
	v_add_f64_e64 v[88:89], v[88:89], -v[189:190]
	v_add_f64_e32 v[90:91], v[207:208], v[90:91]
	s_delay_alu instid0(VALU_DEP_4) | instskip(NEXT) | instid1(VALU_DEP_4)
	v_add_f64_e32 v[151:152], v[211:212], v[151:152]
	v_add_f64_e32 v[86:87], v[86:87], v[143:144]
	v_mul_f64_e32 v[143:144], s[16:17], v[173:174]
	v_add_f64_e32 v[88:89], v[88:89], v[179:180]
	s_delay_alu instid0(VALU_DEP_3) | instskip(SKIP_1) | instid1(VALU_DEP_3)
	v_add_f64_e32 v[86:87], v[90:91], v[86:87]
	v_mul_f64_e32 v[90:91], s[16:17], v[169:170]
	v_add_f64_e32 v[88:89], v[92:93], v[88:89]
	v_add_f64_e32 v[143:144], v[213:214], v[143:144]
	scratch_load_b64 v[92:93], off, off offset:100 th:TH_LOAD_LU ; 8-byte Folded Reload
	v_add_f64_e32 v[86:87], v[151:152], v[86:87]
	v_add_f64_e64 v[90:91], v[90:91], -v[197:198]
	v_add_f64_e32 v[88:89], v[155:156], v[88:89]
	s_delay_alu instid0(VALU_DEP_3) | instskip(SKIP_1) | instid1(VALU_DEP_3)
	v_add_f64_e32 v[181:182], v[143:144], v[86:87]
	v_mul_f64_e32 v[86:87], s[2:3], v[145:146]
	v_add_f64_e32 v[179:180], v[90:91], v[88:89]
	s_clause 0x1
	scratch_load_b64 v[88:89], off, off offset:84 th:TH_LOAD_LU
	scratch_load_b64 v[90:91], off, off offset:76 th:TH_LOAD_LU
	v_mul_f64_e32 v[143:144], s[16:17], v[161:162]
	v_mul_f64_e32 v[145:146], s[18:19], v[173:174]
	s_delay_alu instid0(VALU_DEP_2) | instskip(NEXT) | instid1(VALU_DEP_2)
	v_add_f64_e64 v[143:144], v[143:144], -v[159:160]
	v_add_f64_e32 v[145:146], v[171:172], v[145:146]
	s_wait_loadcnt 0x1
	v_add_f64_e32 v[86:87], v[88:89], v[86:87]
	v_mul_f64_e32 v[88:89], s[2:3], v[141:142]
	scratch_load_b64 v[141:142], off, off offset:92 th:TH_LOAD_LU ; 8-byte Folded Reload
	v_add_f64_e32 v[86:87], v[86:87], v[205:206]
	s_wait_loadcnt 0x1
	v_add_f64_e64 v[88:89], v[88:89], -v[90:91]
	v_mul_f64_e32 v[90:91], s[14:15], v[157:158]
	s_delay_alu instid0(VALU_DEP_2) | instskip(NEXT) | instid1(VALU_DEP_2)
	v_add_f64_e32 v[88:89], v[88:89], v[231:232]
	v_add_f64_e32 v[90:91], v[92:93], v[90:91]
	v_mul_f64_e32 v[92:93], s[14:15], v[153:154]
	s_delay_alu instid0(VALU_DEP_2) | instskip(SKIP_1) | instid1(VALU_DEP_1)
	v_add_f64_e32 v[86:87], v[90:91], v[86:87]
	v_mul_f64_e32 v[90:91], s[18:19], v[169:170]
	v_add_f64_e64 v[90:91], v[90:91], -v[167:168]
	s_wait_loadcnt 0x0
	s_delay_alu instid0(VALU_DEP_4) | instskip(SKIP_1) | instid1(VALU_DEP_2)
	v_add_f64_e64 v[92:93], v[92:93], -v[141:142]
	v_mul_f64_e32 v[141:142], s[16:17], v[165:166]
	v_add_f64_e32 v[88:89], v[92:93], v[88:89]
	s_delay_alu instid0(VALU_DEP_2) | instskip(NEXT) | instid1(VALU_DEP_2)
	v_add_f64_e32 v[141:142], v[163:164], v[141:142]
	v_add_f64_e32 v[88:89], v[143:144], v[88:89]
	s_delay_alu instid0(VALU_DEP_2) | instskip(NEXT) | instid1(VALU_DEP_2)
	v_add_f64_e32 v[86:87], v[141:142], v[86:87]
	v_add_f64_e32 v[141:142], v[90:91], v[88:89]
	s_delay_alu instid0(VALU_DEP_2) | instskip(SKIP_2) | instid1(VALU_DEP_2)
	v_add_f64_e32 v[143:144], v[145:146], v[86:87]
	v_add_f64_e32 v[86:87], v[209:210], v[118:119]
	;; [unrolled: 1-line block ×4, first 2 shown]
	s_delay_alu instid0(VALU_DEP_2) | instskip(NEXT) | instid1(VALU_DEP_2)
	v_add_f64_e32 v[88:89], v[88:89], v[122:123]
	v_add_f64_e32 v[86:87], v[86:87], v[129:130]
	s_delay_alu instid0(VALU_DEP_2) | instskip(NEXT) | instid1(VALU_DEP_2)
	v_add_f64_e32 v[88:89], v[88:89], v[126:127]
	v_add_f64_e32 v[86:87], v[86:87], v[135:136]
	;; [unrolled: 3-line block ×5, first 2 shown]
	scratch_load_b64 v[84:85], off, off offset:68 th:TH_LOAD_LU ; 8-byte Folded Reload
	v_add_f64_e32 v[80:81], v[86:87], v[80:81]
	s_delay_alu instid0(VALU_DEP_1)
	v_add_f64_e32 v[80:81], v[80:81], v[94:95]
	s_wait_loadcnt 0x0
	v_add_f64_e32 v[82:83], v[82:83], v[84:85]
	scratch_load_b64 v[84:85], off, off offset:52 th:TH_LOAD_LU ; 8-byte Folded Reload
	s_wait_loadcnt 0x0
	v_add_f64_e32 v[82:83], v[82:83], v[84:85]
	scratch_load_b64 v[84:85], off, off offset:60 th:TH_LOAD_LU ; 8-byte Folded Reload
	s_wait_loadcnt 0x0
	v_add_f64_e32 v[80:81], v[80:81], v[84:85]
	v_lshrrev_b32_e32 v84, 4, v255
	v_and_b32_e32 v85, 15, v255
	s_delay_alu instid0(VALU_DEP_2) | instskip(NEXT) | instid1(VALU_DEP_1)
	v_mul_u32_u24_e32 v84, 0xb0, v84
	v_or_b32_e32 v84, v84, v85
	s_delay_alu instid0(VALU_DEP_1)
	v_lshlrev_b32_e32 v84, 4, v84
	ds_store_b128 v84, v[175:178] offset:512
	ds_store_b128 v84, v[112:115] offset:1536
	ds_store_b128 v84, v[108:111] offset:1792
	ds_store_b128 v84, v[104:107] offset:2048
	ds_store_b128 v84, v[100:103] offset:2304
	ds_store_b128 v84, v[179:182] offset:768
	ds_store_b128 v84, v[147:150] offset:1024
	ds_store_b128 v84, v[76:79] offset:1280
	ds_store_b128 v84, v[141:144] offset:256
	ds_store_b128 v84, v[80:83]
	ds_store_b128 v84, v[96:99] offset:2560
.LBB0_5:
	s_wait_alu 0xfffe
	s_or_b32 exec_lo, exec_lo, s20
	v_mad_co_u64_u32 v[84:85], null, 0x50, v255, s[10:11]
	global_wb scope:SCOPE_SE
	s_wait_dscnt 0x0
	s_barrier_signal -1
	s_barrier_wait -1
	global_inv scope:SCOPE_SE
	s_mov_b32 s2, 0xe8584caa
	s_mov_b32 s3, 0x3febb67a
	s_clause 0x4
	global_load_b128 v[76:79], v[84:85], off offset:2816
	global_load_b128 v[92:95], v[84:85], off offset:2848
	global_load_b128 v[80:83], v[84:85], off offset:2784
	global_load_b128 v[88:91], v[84:85], off offset:2800
	global_load_b128 v[84:87], v[84:85], off offset:2832
	ds_load_b128 v[118:121], v128 offset:8448
	ds_load_b128 v[122:125], v128 offset:14080
	;; [unrolled: 1-line block ×3, first 2 shown]
	s_mov_b32 s11, 0xbfebb67a
	s_wait_alu 0xfffe
	s_mov_b32 s10, s2
	s_wait_loadcnt_dscnt 0x402
	v_mul_f64_e32 v[126:127], v[120:121], v[78:79]
	v_mul_f64_e32 v[133:134], v[118:119], v[78:79]
	s_wait_loadcnt_dscnt 0x301
	v_mul_f64_e32 v[135:136], v[122:123], v[94:95]
	v_mul_f64_e32 v[137:138], v[124:125], v[94:95]
	;; [unrolled: 3-line block ×3, first 2 shown]
	v_fma_f64 v[126:127], v[118:119], v[76:77], -v[126:127]
	v_fma_f64 v[133:134], v[120:121], v[76:77], v[133:134]
	v_fma_f64 v[135:136], v[124:125], v[92:93], v[135:136]
	v_fma_f64 v[137:138], v[122:123], v[92:93], -v[137:138]
	ds_load_b128 v[118:121], v128 offset:5632
	ds_load_b128 v[122:125], v128 offset:11264
	v_fma_f64 v[129:130], v[129:130], v[80:81], -v[139:140]
	v_fma_f64 v[131:132], v[131:132], v[80:81], v[141:142]
	s_wait_loadcnt_dscnt 0x101
	v_mul_f64_e32 v[143:144], v[120:121], v[90:91]
	v_mul_f64_e32 v[145:146], v[118:119], v[90:91]
	s_wait_loadcnt_dscnt 0x0
	v_mul_f64_e32 v[147:148], v[124:125], v[86:87]
	v_mul_f64_e32 v[149:150], v[122:123], v[86:87]
	v_add_f64_e32 v[139:140], v[133:134], v[135:136]
	v_add_f64_e32 v[141:142], v[126:127], v[137:138]
	v_fma_f64 v[143:144], v[118:119], v[88:89], -v[143:144]
	v_fma_f64 v[145:146], v[120:121], v[88:89], v[145:146]
	v_fma_f64 v[122:123], v[122:123], v[84:85], -v[147:148]
	v_fma_f64 v[124:125], v[124:125], v[84:85], v[149:150]
	v_add_f64_e64 v[118:119], v[133:134], -v[135:136]
	v_add_f64_e64 v[120:121], v[126:127], -v[137:138]
	v_add_f64_e32 v[126:127], v[129:130], v[126:127]
	v_fma_f64 v[139:140], v[139:140], -0.5, v[131:132]
	v_fma_f64 v[141:142], v[141:142], -0.5, v[129:130]
	v_add_f64_e32 v[129:130], v[131:132], v[133:134]
	v_add_f64_e32 v[147:148], v[143:144], v[122:123]
	;; [unrolled: 1-line block ×3, first 2 shown]
	v_add_f64_e64 v[157:158], v[145:146], -v[124:125]
	v_add_f64_e64 v[131:132], v[143:144], -v[122:123]
	v_add_f64_e32 v[126:127], v[126:127], v[137:138]
	s_wait_alu 0xfffe
	v_fma_f64 v[151:152], v[120:121], s[10:11], v[139:140]
	v_fma_f64 v[153:154], v[118:119], s[10:11], v[141:142]
	;; [unrolled: 1-line block ×4, first 2 shown]
	ds_load_b128 v[118:121], v128
	v_add_f64_e32 v[129:130], v[129:130], v[135:136]
	s_wait_dscnt 0x0
	v_add_f64_e32 v[155:156], v[118:119], v[143:144]
	v_add_f64_e32 v[145:146], v[120:121], v[145:146]
	v_fma_f64 v[118:119], v[147:148], -0.5, v[118:119]
	v_fma_f64 v[120:121], v[149:150], -0.5, v[120:121]
	v_mul_f64_e32 v[133:134], s[2:3], v[151:152]
	v_mul_f64_e32 v[143:144], -0.5, v[153:154]
	v_mul_f64_e32 v[147:148], s[10:11], v[141:142]
	v_mul_f64_e32 v[149:150], -0.5, v[139:140]
	v_add_f64_e32 v[122:123], v[155:156], v[122:123]
	v_add_f64_e32 v[124:125], v[145:146], v[124:125]
	v_fma_f64 v[137:138], v[157:158], s[2:3], v[118:119]
	v_fma_f64 v[155:156], v[131:132], s[10:11], v[120:121]
	;; [unrolled: 1-line block ×4, first 2 shown]
	v_fma_f64 v[141:142], v[141:142], 0.5, v[133:134]
	v_fma_f64 v[139:140], v[139:140], s[2:3], v[143:144]
	v_fma_f64 v[143:144], v[151:152], 0.5, v[147:148]
	v_fma_f64 v[147:148], v[153:154], s[10:11], v[149:150]
	s_add_nc_u64 s[2:3], s[8:9], 0x4200
	v_add_f64_e32 v[118:119], v[122:123], v[126:127]
	v_add_f64_e32 v[120:121], v[124:125], v[129:130]
	v_add_f64_e64 v[124:125], v[124:125], -v[129:130]
	v_add_f64_e64 v[122:123], v[122:123], -v[126:127]
	v_add_f64_e32 v[129:130], v[137:138], v[141:142]
	v_add_f64_e32 v[133:134], v[145:146], v[139:140]
	;; [unrolled: 1-line block ×4, first 2 shown]
	v_add_f64_e64 v[137:138], v[137:138], -v[141:142]
	v_add_f64_e64 v[141:142], v[145:146], -v[139:140]
	;; [unrolled: 1-line block ×4, first 2 shown]
	ds_store_b128 v128, v[118:121]
	ds_store_b128 v128, v[129:132] offset:2816
	ds_store_b128 v128, v[133:136] offset:5632
	;; [unrolled: 1-line block ×5, first 2 shown]
	global_wb scope:SCOPE_SE
	s_wait_dscnt 0x0
	s_barrier_signal -1
	s_barrier_wait -1
	global_inv scope:SCOPE_SE
	s_clause 0x5
	global_load_b128 v[116:119], v[116:117], off offset:16896
	global_load_b128 v[120:123], v128, s[2:3] offset:8448
	global_load_b128 v[124:127], v128, s[2:3] offset:2816
	;; [unrolled: 1-line block ×5, first 2 shown]
	ds_load_b128 v[141:144], v128
	ds_load_b128 v[145:148], v128 offset:8448
	ds_load_b128 v[149:152], v128 offset:2816
	ds_load_b128 v[153:156], v128 offset:11264
	ds_load_b128 v[157:160], v128 offset:5632
	ds_load_b128 v[161:164], v128 offset:14080
	s_wait_loadcnt_dscnt 0x505
	v_mul_f64_e32 v[165:166], v[143:144], v[118:119]
	v_mul_f64_e32 v[118:119], v[141:142], v[118:119]
	s_wait_loadcnt_dscnt 0x404
	v_mul_f64_e32 v[167:168], v[147:148], v[122:123]
	v_mul_f64_e32 v[122:123], v[145:146], v[122:123]
	;; [unrolled: 3-line block ×6, first 2 shown]
	v_fma_f64 v[139:140], v[141:142], v[116:117], -v[165:166]
	v_fma_f64 v[141:142], v[143:144], v[116:117], v[118:119]
	v_fma_f64 v[116:117], v[145:146], v[120:121], -v[167:168]
	v_fma_f64 v[118:119], v[147:148], v[120:121], v[122:123]
	;; [unrolled: 2-line block ×6, first 2 shown]
	ds_store_b128 v128, v[139:142]
	ds_store_b128 v128, v[120:123] offset:2816
	ds_store_b128 v128, v[116:119] offset:8448
	;; [unrolled: 1-line block ×5, first 2 shown]
	global_wb scope:SCOPE_SE
	s_wait_dscnt 0x0
	s_barrier_signal -1
	s_barrier_wait -1
	global_inv scope:SCOPE_SE
	ds_load_b128 v[116:119], v128 offset:8448
	ds_load_b128 v[120:123], v128
	ds_load_b128 v[124:127], v128 offset:2816
	ds_load_b128 v[129:132], v128 offset:11264
	;; [unrolled: 1-line block ×4, first 2 shown]
	v_lshlrev_b32_e32 v141, 5, v255
	global_wb scope:SCOPE_SE
	s_wait_dscnt 0x0
	s_barrier_signal -1
	s_barrier_wait -1
	global_inv scope:SCOPE_SE
	v_add_f64_e64 v[116:117], v[120:121], -v[116:117]
	v_add_f64_e64 v[118:119], v[122:123], -v[118:119]
	;; [unrolled: 1-line block ×6, first 2 shown]
	v_fma_f64 v[120:121], v[120:121], 2.0, -v[116:117]
	v_fma_f64 v[122:123], v[122:123], 2.0, -v[118:119]
	;; [unrolled: 1-line block ×6, first 2 shown]
	ds_store_b128 v141, v[120:123]
	ds_store_b128 v141, v[116:119] offset:16
	scratch_load_b32 v116, off, off offset:12 th:TH_LOAD_LU ; 4-byte Folded Reload
	s_wait_loadcnt 0x0
	ds_store_b128 v116, v[124:127]
	ds_store_b128 v116, v[129:132] offset:16
	scratch_load_b32 v116, off, off offset:8 th:TH_LOAD_LU ; 4-byte Folded Reload
	s_wait_loadcnt 0x0
	ds_store_b128 v116, v[133:136]
	ds_store_b128 v116, v[137:140] offset:16
	global_wb scope:SCOPE_SE
	s_wait_dscnt 0x0
	s_barrier_signal -1
	s_barrier_wait -1
	global_inv scope:SCOPE_SE
	ds_load_b128 v[116:119], v128 offset:8448
	ds_load_b128 v[120:123], v128 offset:11264
	ds_load_b128 v[124:127], v128 offset:14080
	ds_load_b128 v[129:132], v128 offset:5632
	s_wait_dscnt 0x3
	v_mul_f64_e32 v[133:134], v[26:27], v[118:119]
	s_wait_dscnt 0x2
	v_mul_f64_e32 v[137:138], v[26:27], v[122:123]
	v_mul_f64_e32 v[135:136], v[26:27], v[116:117]
	v_mul_f64_e32 v[139:140], v[26:27], v[120:121]
	s_wait_dscnt 0x1
	v_mul_f64_e32 v[141:142], v[26:27], v[126:127]
	v_mul_f64_e32 v[26:27], v[26:27], v[124:125]
	v_fma_f64 v[133:134], v[24:25], v[116:117], v[133:134]
	v_fma_f64 v[137:138], v[24:25], v[120:121], v[137:138]
	v_fma_f64 v[135:136], v[24:25], v[118:119], -v[135:136]
	v_fma_f64 v[139:140], v[24:25], v[122:123], -v[139:140]
	v_fma_f64 v[141:142], v[24:25], v[124:125], v[141:142]
	v_fma_f64 v[143:144], v[24:25], v[126:127], -v[26:27]
	ds_load_b128 v[24:27], v128
	ds_load_b128 v[116:119], v128 offset:2816
	global_wb scope:SCOPE_SE
	s_wait_dscnt 0x0
	s_barrier_signal -1
	s_barrier_wait -1
	global_inv scope:SCOPE_SE
	v_add_f64_e64 v[120:121], v[24:25], -v[133:134]
	v_add_f64_e64 v[124:125], v[116:117], -v[137:138]
	scratch_load_b32 v137, off, off offset:24 th:TH_LOAD_LU ; 4-byte Folded Reload
	v_add_f64_e64 v[122:123], v[26:27], -v[135:136]
	v_add_f64_e64 v[126:127], v[118:119], -v[139:140]
	v_add_f64_e64 v[133:134], v[129:130], -v[141:142]
	v_add_f64_e64 v[135:136], v[131:132], -v[143:144]
	v_fma_f64 v[24:25], v[24:25], 2.0, -v[120:121]
	v_fma_f64 v[116:117], v[116:117], 2.0, -v[124:125]
	v_fma_f64 v[26:27], v[26:27], 2.0, -v[122:123]
	v_fma_f64 v[118:119], v[118:119], 2.0, -v[126:127]
	v_fma_f64 v[129:130], v[129:130], 2.0, -v[133:134]
	v_fma_f64 v[131:132], v[131:132], 2.0, -v[135:136]
	s_wait_loadcnt 0x0
	ds_store_b128 v137, v[24:27]
	ds_store_b128 v137, v[120:123] offset:32
	scratch_load_b32 v24, off, off offset:20 th:TH_LOAD_LU ; 4-byte Folded Reload
	s_wait_loadcnt 0x0
	ds_store_b128 v24, v[116:119]
	ds_store_b128 v24, v[124:127] offset:32
	scratch_load_b32 v24, off, off offset:16 th:TH_LOAD_LU ; 4-byte Folded Reload
	s_wait_loadcnt 0x0
	ds_store_b128 v24, v[129:132]
	ds_store_b128 v24, v[133:136] offset:32
	global_wb scope:SCOPE_SE
	s_wait_dscnt 0x0
	s_barrier_signal -1
	s_barrier_wait -1
	global_inv scope:SCOPE_SE
	ds_load_b128 v[24:27], v128 offset:8448
	ds_load_b128 v[116:119], v128 offset:11264
	ds_load_b128 v[120:123], v128 offset:14080
	ds_load_b128 v[124:127], v128 offset:5632
	s_wait_dscnt 0x3
	v_mul_f64_e32 v[129:130], v[34:35], v[26:27]
	s_wait_dscnt 0x2
	v_mul_f64_e32 v[133:134], v[34:35], v[118:119]
	v_mul_f64_e32 v[131:132], v[34:35], v[24:25]
	v_mul_f64_e32 v[135:136], v[34:35], v[116:117]
	s_wait_dscnt 0x1
	v_mul_f64_e32 v[137:138], v[34:35], v[122:123]
	v_mul_f64_e32 v[34:35], v[34:35], v[120:121]
	v_fma_f64 v[129:130], v[32:33], v[24:25], v[129:130]
	v_fma_f64 v[133:134], v[32:33], v[116:117], v[133:134]
	v_fma_f64 v[131:132], v[32:33], v[26:27], -v[131:132]
	v_fma_f64 v[135:136], v[32:33], v[118:119], -v[135:136]
	v_fma_f64 v[137:138], v[32:33], v[120:121], v[137:138]
	v_fma_f64 v[139:140], v[32:33], v[122:123], -v[34:35]
	ds_load_b128 v[24:27], v128
	ds_load_b128 v[32:35], v128 offset:2816
	global_wb scope:SCOPE_SE
	s_wait_dscnt 0x0
	s_barrier_signal -1
	s_barrier_wait -1
	global_inv scope:SCOPE_SE
	v_add_f64_e64 v[116:117], v[24:25], -v[129:130]
	v_add_f64_e64 v[120:121], v[32:33], -v[133:134]
	scratch_load_b32 v133, off, off offset:48 th:TH_LOAD_LU ; 4-byte Folded Reload
	v_add_f64_e64 v[118:119], v[26:27], -v[131:132]
	v_add_f64_e64 v[122:123], v[34:35], -v[135:136]
	v_add_f64_e64 v[129:130], v[124:125], -v[137:138]
	v_add_f64_e64 v[131:132], v[126:127], -v[139:140]
	v_fma_f64 v[24:25], v[24:25], 2.0, -v[116:117]
	v_fma_f64 v[32:33], v[32:33], 2.0, -v[120:121]
	v_fma_f64 v[26:27], v[26:27], 2.0, -v[118:119]
	v_fma_f64 v[34:35], v[34:35], 2.0, -v[122:123]
	v_fma_f64 v[124:125], v[124:125], 2.0, -v[129:130]
	v_fma_f64 v[126:127], v[126:127], 2.0, -v[131:132]
	s_wait_loadcnt 0x0
	;; [unrolled: 55-line block ×3, first 2 shown]
	ds_store_b128 v129, v[24:27]
	ds_store_b128 v129, v[32:35] offset:128
	scratch_load_b32 v129, off, off offset:32 th:TH_LOAD_LU ; 4-byte Folded Reload
	s_wait_loadcnt 0x0
	ds_store_b128 v129, v[116:119]
	ds_store_b128 v129, v[36:39] offset:128
	scratch_load_b32 v129, off, off offset:28 th:TH_LOAD_LU ; 4-byte Folded Reload
	s_wait_loadcnt 0x0
	ds_store_b128 v129, v[120:123]
	ds_store_b128 v129, v[124:127] offset:128
	global_wb scope:SCOPE_SE
	s_wait_dscnt 0x0
	s_barrier_signal -1
	s_barrier_wait -1
	global_inv scope:SCOPE_SE
	s_and_saveexec_b32 s2, vcc_lo
	s_cbranch_execz .LBB0_7
; %bb.6:
	ds_load_b128 v[24:27], v128
	ds_load_b128 v[32:35], v128 offset:1536
	ds_load_b128 v[116:119], v128 offset:3072
	ds_load_b128 v[36:39], v128 offset:4608
	ds_load_b128 v[120:123], v128 offset:6144
	ds_load_b128 v[124:127], v128 offset:7680
	ds_load_b128 v[112:115], v128 offset:9216
	ds_load_b128 v[108:111], v128 offset:10752
	ds_load_b128 v[104:107], v128 offset:12288
	ds_load_b128 v[100:103], v128 offset:13824
	ds_load_b128 v[96:99], v128 offset:15360
.LBB0_7:
	s_wait_alu 0xfffe
	s_or_b32 exec_lo, exec_lo, s2
	global_wb scope:SCOPE_SE
	s_wait_dscnt 0x0
	s_barrier_signal -1
	s_barrier_wait -1
	global_inv scope:SCOPE_SE
	s_and_saveexec_b32 s16, vcc_lo
	s_cbranch_execz .LBB0_9
; %bb.8:
	v_mul_f64_e32 v[129:130], v[30:31], v[32:33]
	v_mul_f64_e32 v[30:31], v[30:31], v[34:35]
	;; [unrolled: 1-line block ×20, first 2 shown]
	s_mov_b32 s22, 0xbb3a28a1
	s_mov_b32 s23, 0xbfe82f19
	;; [unrolled: 1-line block ×10, first 2 shown]
	s_wait_alu 0xfffe
	s_mov_b32 s28, s24
	s_mov_b32 s10, 0x7f775887
	;; [unrolled: 1-line block ×8, first 2 shown]
	v_fma_f64 v[129:130], v[28:29], v[34:35], -v[129:130]
	v_fma_f64 v[153:154], v[28:29], v[32:33], v[30:31]
	v_fma_f64 v[124:125], v[60:61], v[124:125], v[131:132]
	v_fma_f64 v[112:113], v[64:65], v[112:113], v[133:134]
	v_fma_f64 v[60:61], v[60:61], v[126:127], -v[62:63]
	v_fma_f64 v[62:63], v[64:65], v[114:115], -v[66:67]
	v_fma_f64 v[66:67], v[40:41], v[116:117], v[143:144]
	v_fma_f64 v[32:33], v[48:49], v[100:101], v[145:146]
	;; [unrolled: 1-line block ×3, first 2 shown]
	v_fma_f64 v[40:41], v[40:41], v[118:119], -v[149:150]
	v_fma_f64 v[34:35], v[48:49], v[102:103], -v[50:51]
	;; [unrolled: 1-line block ×3, first 2 shown]
	v_fma_f64 v[64:65], v[56:57], v[120:121], v[135:136]
	v_fma_f64 v[42:43], v[68:69], v[108:109], v[137:138]
	v_fma_f64 v[56:57], v[56:57], v[122:123], -v[58:59]
	v_fma_f64 v[46:47], v[68:69], v[110:111], -v[70:71]
	v_fma_f64 v[58:59], v[52:53], v[36:37], v[139:140]
	v_fma_f64 v[36:37], v[72:73], v[104:105], v[141:142]
	v_fma_f64 v[52:53], v[52:53], v[38:39], -v[54:55]
	v_fma_f64 v[38:39], v[72:73], v[106:107], -v[74:75]
	s_mov_b32 s34, s26
	s_mov_b32 s2, 0xd9c712b6
	;; [unrolled: 1-line block ×3, first 2 shown]
	v_add_f64_e32 v[44:45], v[26:27], v[129:130]
	v_add_f64_e32 v[48:49], v[24:25], v[153:154]
	v_add_f64_e64 v[50:51], v[124:125], -v[112:113]
	v_add_f64_e32 v[114:115], v[124:125], v[112:113]
	v_add_f64_e64 v[74:75], v[60:61], -v[62:63]
	;; [unrolled: 2-line block ×3, first 2 shown]
	v_add_f64_e64 v[72:73], v[153:154], -v[28:29]
	v_add_f64_e32 v[120:121], v[153:154], v[28:29]
	v_add_f64_e64 v[100:101], v[40:41], -v[34:35]
	v_add_f64_e64 v[102:103], v[129:130], -v[30:31]
	v_add_f64_e32 v[110:111], v[129:130], v[30:31]
	v_add_f64_e64 v[54:55], v[64:65], -v[42:43]
	v_add_f64_e32 v[116:117], v[64:65], v[42:43]
	;; [unrolled: 2-line block ×5, first 2 shown]
	v_add_f64_e32 v[44:45], v[44:45], v[40:41]
	v_add_f64_e32 v[48:49], v[48:49], v[66:67]
	;; [unrolled: 1-line block ×3, first 2 shown]
	v_mul_f64_e32 v[145:146], s[20:21], v[50:51]
	v_add_f64_e32 v[66:67], v[66:67], v[32:33]
	v_mul_f64_e32 v[151:152], s[20:21], v[74:75]
	v_mul_f64_e32 v[122:123], s[18:19], v[50:51]
	;; [unrolled: 1-line block ×5, first 2 shown]
	s_wait_alu 0xfffe
	v_mul_f64_e32 v[197:198], s[28:29], v[72:73]
	v_mul_f64_e32 v[159:160], s[22:23], v[102:103]
	;; [unrolled: 1-line block ×10, first 2 shown]
	s_mov_b32 s21, 0xbfed1bb4
	v_mul_f64_e32 v[167:168], s[34:35], v[70:71]
	s_wait_alu 0xfffe
	v_mul_f64_e32 v[199:200], s[20:21], v[102:103]
	v_mul_f64_e32 v[102:103], s[28:29], v[102:103]
	;; [unrolled: 1-line block ×16, first 2 shown]
	v_add_f64_e32 v[44:45], v[44:45], v[52:53]
	v_add_f64_e32 v[48:49], v[48:49], v[58:59]
	v_mul_f64_e32 v[58:59], s[22:23], v[72:73]
	v_mul_f64_e32 v[72:73], s[20:21], v[72:73]
	;; [unrolled: 1-line block ×5, first 2 shown]
	v_fma_f64 v[203:204], v[40:41], s[12:13], v[131:132]
	v_fma_f64 v[205:206], v[110:111], s[8:9], v[133:134]
	v_fma_f64 v[133:134], v[110:111], s[8:9], -v[133:134]
	v_fma_f64 v[221:222], v[110:111], s[14:15], v[169:170]
	v_fma_f64 v[219:220], v[120:121], s[10:11], -v[159:160]
	;; [unrolled: 2-line block ×4, first 2 shown]
	v_fma_f64 v[169:170], v[110:111], s[14:15], -v[169:170]
	v_fma_f64 v[225:226], v[110:111], s[12:13], v[197:198]
	v_fma_f64 v[197:198], v[110:111], s[12:13], -v[197:198]
	v_fma_f64 v[179:180], v[120:121], s[14:15], v[179:180]
	v_fma_f64 v[213:214], v[66:67], s[12:13], -v[141:142]
	v_fma_f64 v[131:132], v[40:41], s[12:13], -v[131:132]
	v_fma_f64 v[229:230], v[120:121], s[2:3], v[199:200]
	v_fma_f64 v[141:142], v[66:67], s[12:13], v[141:142]
	v_fma_f64 v[231:232], v[66:67], s[8:9], -v[177:178]
	v_fma_f64 v[177:178], v[66:67], s[8:9], v[177:178]
	v_fma_f64 v[233:234], v[40:41], s[10:11], v[187:188]
	v_fma_f64 v[235:236], v[66:67], s[10:11], -v[195:196]
	v_fma_f64 v[187:188], v[40:41], s[10:11], -v[187:188]
	v_fma_f64 v[195:196], v[66:67], s[10:11], v[195:196]
	v_mul_f64_e32 v[54:55], s[22:23], v[54:55]
	v_fma_f64 v[201:202], v[108:109], s[10:11], v[129:130]
	v_fma_f64 v[211:212], v[118:119], s[10:11], -v[139:140]
	v_fma_f64 v[129:130], v[108:109], s[10:11], -v[129:130]
	v_fma_f64 v[139:140], v[118:119], s[10:11], v[139:140]
	v_fma_f64 v[241:242], v[108:109], s[14:15], v[68:69]
	v_fma_f64 v[243:244], v[118:119], s[14:15], -v[98:99]
	v_fma_f64 v[68:69], v[108:109], s[14:15], -v[68:69]
	v_add_f64_e32 v[44:45], v[44:45], v[56:57]
	v_add_f64_e32 v[48:49], v[48:49], v[64:65]
	v_fma_f64 v[217:218], v[110:111], s[10:11], v[58:59]
	v_fma_f64 v[58:59], v[110:111], s[10:11], -v[58:59]
	v_mul_f64_e32 v[56:57], s[20:21], v[70:71]
	v_mul_f64_e32 v[64:65], s[20:21], v[100:101]
	v_fma_f64 v[227:228], v[110:111], s[2:3], -v[72:73]
	v_fma_f64 v[72:73], v[110:111], s[2:3], v[72:73]
	v_fma_f64 v[110:111], v[120:121], s[2:3], -v[199:200]
	v_fma_f64 v[199:200], v[40:41], s[8:9], v[167:168]
	v_fma_f64 v[167:168], v[40:41], s[8:9], -v[167:168]
	v_add_f64_e32 v[133:134], v[26:27], v[133:134]
	v_add_f64_e32 v[159:160], v[24:25], v[159:160]
	v_fma_f64 v[98:99], v[118:119], s[14:15], v[98:99]
	v_add_f64_e32 v[143:144], v[24:25], v[143:144]
	v_mul_f64_e32 v[173:174], s[28:29], v[96:97]
	v_add_f64_e32 v[169:170], v[26:27], v[169:170]
	v_mul_f64_e32 v[96:97], s[22:23], v[96:97]
	v_add_f64_e32 v[197:198], v[26:27], v[197:198]
	v_add_f64_e32 v[179:180], v[24:25], v[179:180]
	v_mul_f64_e32 v[135:136], s[18:19], v[74:75]
	v_mul_f64_e32 v[161:162], s[22:23], v[50:51]
	;; [unrolled: 1-line block ×4, first 2 shown]
	v_fma_f64 v[100:101], v[106:107], s[2:3], v[126:127]
	v_fma_f64 v[209:210], v[116:117], s[2:3], -v[137:138]
	v_fma_f64 v[126:127], v[106:107], s[2:3], -v[126:127]
	v_fma_f64 v[137:138], v[116:117], s[2:3], v[137:138]
	v_mul_f64_e32 v[171:172], s[22:23], v[74:75]
	v_mul_f64_e32 v[189:190], s[24:25], v[74:75]
	;; [unrolled: 1-line block ×3, first 2 shown]
	v_fma_f64 v[70:71], v[104:105], s[14:15], v[122:123]
	v_fma_f64 v[122:123], v[104:105], s[14:15], -v[122:123]
	v_add_f64_e32 v[44:45], v[44:45], v[60:61]
	v_add_f64_e32 v[48:49], v[48:49], v[124:125]
	v_fma_f64 v[60:61], v[120:121], s[12:13], v[102:103]
	v_fma_f64 v[102:103], v[120:121], s[12:13], -v[102:103]
	v_fma_f64 v[120:121], v[40:41], s[14:15], v[52:53]
	v_fma_f64 v[124:125], v[66:67], s[14:15], -v[157:158]
	v_fma_f64 v[52:53], v[40:41], s[14:15], -v[52:53]
	v_fma_f64 v[157:158], v[66:67], s[14:15], v[157:158]
	v_add_f64_e32 v[58:59], v[26:27], v[58:59]
	v_fma_f64 v[237:238], v[40:41], s[2:3], v[56:57]
	v_fma_f64 v[239:240], v[66:67], s[2:3], -v[64:65]
	v_fma_f64 v[40:41], v[40:41], s[2:3], -v[56:57]
	v_fma_f64 v[56:57], v[66:67], s[2:3], v[64:65]
	v_add_f64_e32 v[64:65], v[26:27], v[205:206]
	v_add_f64_e32 v[66:67], v[24:25], v[215:216]
	;; [unrolled: 1-line block ×11, first 2 shown]
	v_fma_f64 v[110:111], v[108:109], s[12:13], -v[149:150]
	v_fma_f64 v[227:228], v[108:109], s[8:9], v[185:186]
	v_fma_f64 v[229:230], v[118:119], s[8:9], -v[193:194]
	v_fma_f64 v[185:186], v[108:109], s[8:9], -v[185:186]
	v_fma_f64 v[193:194], v[118:119], s[8:9], v[193:194]
	v_fma_f64 v[207:208], v[114:115], s[14:15], -v[135:136]
	v_fma_f64 v[135:136], v[114:115], s[14:15], v[135:136]
	v_add_f64_e32 v[44:45], v[44:45], v[62:63]
	v_add_f64_e32 v[48:49], v[48:49], v[112:113]
	v_add_f64_e32 v[60:61], v[24:25], v[60:61]
	v_add_f64_e32 v[24:25], v[24:25], v[102:103]
	v_fma_f64 v[112:113], v[118:119], s[12:13], v[155:156]
	v_fma_f64 v[62:63], v[108:109], s[12:13], v[149:150]
	v_fma_f64 v[102:103], v[118:119], s[12:13], -v[155:156]
	v_fma_f64 v[149:150], v[108:109], s[2:3], v[165:166]
	v_add_f64_e32 v[52:53], v[52:53], v[58:59]
	v_add_f64_e32 v[58:59], v[157:158], v[159:160]
	v_fma_f64 v[155:156], v[118:119], s[2:3], -v[175:176]
	v_fma_f64 v[165:166], v[108:109], s[2:3], -v[165:166]
	v_fma_f64 v[175:176], v[118:119], s[2:3], v[175:176]
	v_add_f64_e32 v[64:65], v[203:204], v[64:65]
	v_add_f64_e32 v[66:67], v[213:214], v[66:67]
	v_add_f64_e32 v[108:109], v[131:132], v[133:134]
	v_add_f64_e32 v[118:119], v[141:142], v[143:144]
	v_add_f64_e32 v[120:121], v[120:121], v[205:206]
	v_add_f64_e32 v[124:125], v[124:125], v[215:216]
	v_add_f64_e32 v[131:132], v[199:200], v[217:218]
	v_add_f64_e32 v[133:134], v[231:232], v[219:220]
	v_add_f64_e32 v[141:142], v[167:168], v[169:170]
	v_add_f64_e32 v[40:41], v[40:41], v[197:198]
	v_add_f64_e32 v[159:160], v[187:188], v[223:224]
	v_add_f64_e32 v[167:168], v[195:196], v[225:226]
	v_add_f64_e32 v[143:144], v[177:178], v[179:180]
	v_add_f64_e32 v[26:27], v[233:234], v[26:27]
	v_add_f64_e32 v[72:73], v[235:236], v[72:73]
	v_add_f64_e32 v[157:158], v[237:238], v[221:222]
	v_fma_f64 v[177:178], v[106:107], s[14:15], v[183:184]
	v_fma_f64 v[179:180], v[116:117], s[14:15], -v[191:192]
	v_fma_f64 v[183:184], v[106:107], s[14:15], -v[183:184]
	v_fma_f64 v[187:188], v[116:117], s[14:15], v[191:192]
	v_fma_f64 v[191:192], v[106:107], s[10:11], v[54:55]
	v_fma_f64 v[54:55], v[106:107], s[10:11], -v[54:55]
	v_fma_f64 v[169:170], v[116:117], s[12:13], -v[173:174]
	v_fma_f64 v[173:174], v[116:117], s[12:13], v[173:174]
	v_fma_f64 v[195:196], v[116:117], s[10:11], -v[96:97]
	v_add_f64_e32 v[44:45], v[44:45], v[46:47]
	v_add_f64_e32 v[42:43], v[48:49], v[42:43]
	v_add_f64_e32 v[46:47], v[56:57], v[60:61]
	v_add_f64_e32 v[24:25], v[239:240], v[24:25]
	v_fma_f64 v[48:49], v[106:107], s[8:9], v[147:148]
	v_fma_f64 v[60:61], v[106:107], s[8:9], -v[147:148]
	v_fma_f64 v[147:148], v[116:117], s[8:9], v[153:154]
	v_fma_f64 v[56:57], v[116:117], s[8:9], -v[153:154]
	v_add_f64_e32 v[52:53], v[110:111], v[52:53]
	v_add_f64_e32 v[58:59], v[112:113], v[58:59]
	v_fma_f64 v[153:154], v[106:107], s[12:13], v[163:164]
	v_fma_f64 v[163:164], v[106:107], s[12:13], -v[163:164]
	v_fma_f64 v[96:97], v[116:117], s[10:11], v[96:97]
	v_add_f64_e32 v[64:65], v[201:202], v[64:65]
	v_add_f64_e32 v[66:67], v[211:212], v[66:67]
	;; [unrolled: 1-line block ×16, first 2 shown]
	v_fma_f64 v[129:130], v[114:115], s[2:3], v[151:152]
	v_fma_f64 v[131:132], v[104:105], s[10:11], v[161:162]
	v_fma_f64 v[139:140], v[104:105], s[10:11], -v[161:162]
	v_fma_f64 v[143:144], v[104:105], s[12:13], v[181:182]
	v_fma_f64 v[149:150], v[104:105], s[12:13], -v[181:182]
	;; [unrolled: 2-line block ×4, first 2 shown]
	v_add_f64_e32 v[38:39], v[44:45], v[38:39]
	v_add_f64_e32 v[36:37], v[42:43], v[36:37]
	;; [unrolled: 1-line block ×4, first 2 shown]
	v_fma_f64 v[98:99], v[104:105], s[2:3], -v[145:146]
	v_fma_f64 v[44:45], v[104:105], s[2:3], v[145:146]
	v_fma_f64 v[104:105], v[104:105], s[8:9], -v[50:51]
	v_fma_f64 v[46:47], v[114:115], s[2:3], -v[151:152]
	v_add_f64_e32 v[52:53], v[60:61], v[52:53]
	v_add_f64_e32 v[58:59], v[147:148], v[58:59]
	v_fma_f64 v[151:152], v[114:115], s[12:13], v[189:190]
	v_fma_f64 v[145:146], v[114:115], s[12:13], -v[189:190]
	v_fma_f64 v[74:75], v[114:115], s[8:9], v[74:75]
	v_add_f64_e32 v[50:51], v[100:101], v[64:65]
	v_add_f64_e32 v[64:65], v[209:210], v[66:67]
	;; [unrolled: 1-line block ×38, first 2 shown]
	v_lshrrev_b32_e32 v68, 4, v255
	v_and_b32_e32 v69, 15, v255
	s_delay_alu instid0(VALU_DEP_2)
	v_mul_u32_u24_e32 v68, 0xb0, v68
	v_add_f64_e32 v[30:31], v[116:117], v[30:31]
	v_add_f64_e32 v[28:29], v[118:119], v[28:29]
	;; [unrolled: 1-line block ×4, first 2 shown]
	v_or_b32_e32 v68, v68, v69
	s_delay_alu instid0(VALU_DEP_1)
	v_lshlrev_b32_e32 v68, 4, v68
	ds_store_b128 v68, v[40:43] offset:1024
	ds_store_b128 v68, v[32:35] offset:1280
	;; [unrolled: 1-line block ×8, first 2 shown]
	ds_store_b128 v68, v[28:31]
	ds_store_b128 v68, v[56:59] offset:256
	ds_store_b128 v68, v[52:55] offset:2560
.LBB0_9:
	s_wait_alu 0xfffe
	s_or_b32 exec_lo, exec_lo, s16
	global_wb scope:SCOPE_SE
	s_wait_dscnt 0x0
	s_barrier_signal -1
	s_barrier_wait -1
	global_inv scope:SCOPE_SE
	ds_load_b128 v[24:27], v128 offset:8448
	ds_load_b128 v[28:31], v128 offset:14080
	;; [unrolled: 1-line block ×3, first 2 shown]
	s_mov_b32 s2, 0xe8584caa
	s_mov_b32 s3, 0xbfebb67a
	;; [unrolled: 1-line block ×3, first 2 shown]
	s_wait_alu 0xfffe
	s_mov_b32 s8, s2
	s_wait_dscnt 0x2
	v_mul_f64_e32 v[36:37], v[78:79], v[24:25]
	s_wait_dscnt 0x1
	v_mul_f64_e32 v[38:39], v[94:95], v[28:29]
	;; [unrolled: 2-line block ×3, first 2 shown]
	v_mul_f64_e32 v[46:47], v[78:79], v[26:27]
	v_mul_f64_e32 v[48:49], v[94:95], v[30:31]
	v_fma_f64 v[50:51], v[76:77], v[26:27], -v[36:37]
	v_fma_f64 v[30:31], v[92:93], v[30:31], -v[38:39]
	ds_load_b128 v[36:39], v128 offset:5632
	ds_load_b128 v[40:43], v128 offset:11264
	v_mul_f64_e32 v[26:27], v[82:83], v[34:35]
	v_fma_f64 v[46:47], v[76:77], v[24:25], v[46:47]
	v_fma_f64 v[28:29], v[92:93], v[28:29], v[48:49]
	v_fma_f64 v[34:35], v[80:81], v[34:35], -v[44:45]
	s_wait_dscnt 0x1
	v_mul_f64_e32 v[52:53], v[90:91], v[38:39]
	v_mul_f64_e32 v[54:55], v[90:91], v[36:37]
	s_wait_dscnt 0x0
	v_mul_f64_e32 v[56:57], v[86:87], v[42:43]
	v_mul_f64_e32 v[58:59], v[86:87], v[40:41]
	v_add_f64_e32 v[24:25], v[50:51], v[30:31]
	v_fma_f64 v[32:33], v[80:81], v[32:33], v[26:27]
	v_add_f64_e32 v[26:27], v[46:47], v[28:29]
	v_add_f64_e64 v[44:45], v[46:47], -v[28:29]
	v_fma_f64 v[36:37], v[88:89], v[36:37], v[52:53]
	v_fma_f64 v[38:39], v[88:89], v[38:39], -v[54:55]
	v_fma_f64 v[40:41], v[84:85], v[40:41], v[56:57]
	v_fma_f64 v[42:43], v[84:85], v[42:43], -v[58:59]
	v_add_f64_e64 v[54:55], v[50:51], -v[30:31]
	v_fma_f64 v[24:25], v[24:25], -0.5, v[34:35]
	v_add_f64_e32 v[34:35], v[34:35], v[50:51]
	v_fma_f64 v[56:57], v[26:27], -0.5, v[32:33]
	v_add_f64_e32 v[32:33], v[32:33], v[46:47]
	v_add_f64_e32 v[48:49], v[36:37], v[40:41]
	;; [unrolled: 1-line block ×3, first 2 shown]
	v_add_f64_e64 v[62:63], v[38:39], -v[42:43]
	s_wait_alu 0xfffe
	v_fma_f64 v[58:59], v[44:45], s[8:9], v[24:25]
	v_fma_f64 v[44:45], v[44:45], s[2:3], v[24:25]
	ds_load_b128 v[24:27], v128
	v_add_f64_e32 v[30:31], v[34:35], v[30:31]
	v_fma_f64 v[46:47], v[54:55], s[2:3], v[56:57]
	v_add_f64_e32 v[28:29], v[32:33], v[28:29]
	s_wait_dscnt 0x0
	v_add_f64_e32 v[60:61], v[24:25], v[36:37]
	v_add_f64_e32 v[38:39], v[26:27], v[38:39]
	v_add_f64_e64 v[36:37], v[36:37], -v[40:41]
	v_fma_f64 v[24:25], v[48:49], -0.5, v[24:25]
	v_fma_f64 v[26:27], v[52:53], -0.5, v[26:27]
	v_fma_f64 v[48:49], v[54:55], s[8:9], v[56:57]
	v_mul_f64_e32 v[50:51], s[2:3], v[58:59]
	v_mul_f64_e32 v[54:55], 0.5, v[58:59]
	v_mul_f64_e32 v[52:53], s[2:3], v[44:45]
	v_mul_f64_e32 v[44:45], -0.5, v[44:45]
	v_add_f64_e32 v[40:41], v[60:61], v[40:41]
	v_add_f64_e32 v[38:39], v[38:39], v[42:43]
	v_fma_f64 v[42:43], v[62:63], s[2:3], v[24:25]
	v_fma_f64 v[58:59], v[36:37], s[8:9], v[26:27]
	;; [unrolled: 1-line block ×4, first 2 shown]
	v_mad_co_u64_u32 v[62:63], null, s4, v255, 0
	s_mul_u64 s[2:3], s[4:5], 0x2100
	v_fma_f64 v[50:51], v[46:47], 0.5, v[50:51]
	v_fma_f64 v[46:47], v[46:47], s[8:9], v[54:55]
	v_fma_f64 v[52:53], v[48:49], -0.5, v[52:53]
	v_fma_f64 v[48:49], v[48:49], s[8:9], v[44:45]
	v_add_f64_e32 v[24:25], v[40:41], v[28:29]
	v_add_f64_e32 v[26:27], v[38:39], v[30:31]
	v_add_f64_e64 v[30:31], v[38:39], -v[30:31]
	v_add_f64_e64 v[28:29], v[40:41], -v[28:29]
	v_add_f64_e32 v[32:33], v[42:43], v[50:51]
	v_add_f64_e32 v[34:35], v[58:59], v[46:47]
	;; [unrolled: 1-line block ×4, first 2 shown]
	v_add_f64_e64 v[40:41], v[42:43], -v[50:51]
	v_add_f64_e64 v[42:43], v[58:59], -v[46:47]
	;; [unrolled: 1-line block ×4, first 2 shown]
	ds_store_b128 v128, v[24:27]
	ds_store_b128 v128, v[32:35] offset:2816
	ds_store_b128 v128, v[36:39] offset:5632
	;; [unrolled: 1-line block ×5, first 2 shown]
	global_wb scope:SCOPE_SE
	s_wait_dscnt 0x0
	s_barrier_signal -1
	s_barrier_wait -1
	global_inv scope:SCOPE_SE
	ds_load_b128 v[24:27], v128
	ds_load_b128 v[28:31], v128 offset:8448
	ds_load_b128 v[32:35], v128 offset:2816
	;; [unrolled: 1-line block ×5, first 2 shown]
	scratch_load_b64 v[60:61], off, off th:TH_LOAD_LU ; 8-byte Folded Reload
	s_wait_dscnt 0x5
	v_mul_f64_e32 v[48:49], v[14:15], v[26:27]
	v_mul_f64_e32 v[14:15], v[14:15], v[24:25]
	s_wait_dscnt 0x4
	v_mul_f64_e32 v[50:51], v[6:7], v[30:31]
	v_mul_f64_e32 v[6:7], v[6:7], v[28:29]
	;; [unrolled: 3-line block ×6, first 2 shown]
	v_fma_f64 v[24:25], v[12:13], v[24:25], v[48:49]
	v_fma_f64 v[12:13], v[12:13], v[26:27], -v[14:15]
	v_fma_f64 v[14:15], v[4:5], v[28:29], v[50:51]
	v_fma_f64 v[6:7], v[4:5], v[30:31], -v[6:7]
	;; [unrolled: 2-line block ×6, first 2 shown]
	s_wait_loadcnt 0x0
	v_mov_b32_e32 v64, v60
	s_delay_alu instid0(VALU_DEP_1) | instskip(NEXT) | instid1(VALU_DEP_1)
	v_mad_co_u64_u32 v[60:61], null, s6, v64, 0
	v_mad_co_u64_u32 v[64:65], null, s7, v64, v[61:62]
	s_delay_alu instid0(VALU_DEP_1) | instskip(SKIP_1) | instid1(VALU_DEP_1)
	v_mad_co_u64_u32 v[65:66], null, s5, v255, v[63:64]
	v_mov_b32_e32 v61, v64
	v_lshlrev_b64_e32 v[0:1], 4, v[60:61]
	s_delay_alu instid0(VALU_DEP_3) | instskip(NEXT) | instid1(VALU_DEP_1)
	v_mov_b32_e32 v63, v65
	v_lshlrev_b64_e32 v[2:3], 4, v[62:63]
	s_delay_alu instid0(VALU_DEP_3) | instskip(SKIP_1) | instid1(VALU_DEP_4)
	v_add_co_u32 v0, vcc_lo, s0, v0
	s_wait_alu 0xfffd
	v_add_co_ci_u32_e32 v1, vcc_lo, s1, v1, vcc_lo
	s_mov_b32 s0, 0xf07c1f08
	s_delay_alu instid0(VALU_DEP_2) | instskip(SKIP_1) | instid1(VALU_DEP_2)
	v_add_co_u32 v36, vcc_lo, v0, v2
	s_wait_alu 0xfffd
	v_add_co_ci_u32_e32 v37, vcc_lo, v1, v3, vcc_lo
	s_mov_b32 s1, 0x3f4f07c1
	s_wait_alu 0xfffe
	v_add_co_u32 v38, vcc_lo, v36, s2
	v_mul_f64_e32 v[0:1], s[0:1], v[24:25]
	v_mul_f64_e32 v[2:3], s[0:1], v[12:13]
	;; [unrolled: 1-line block ×4, first 2 shown]
	s_wait_alu 0xfffd
	v_add_co_ci_u32_e32 v39, vcc_lo, s3, v37, vcc_lo
	v_mul_f64_e32 v[8:9], s[0:1], v[26:27]
	v_mul_f64_e32 v[10:11], s[0:1], v[10:11]
	;; [unrolled: 1-line block ×8, first 2 shown]
	v_mad_co_u64_u32 v[24:25], null, 0xffffea00, s4, v[38:39]
	s_mul_i32 s0, s5, 0xffffea00
	s_wait_alu 0xfffe
	s_sub_co_i32 s0, s0, s4
	s_wait_alu 0xfffe
	s_delay_alu instid0(VALU_DEP_1) | instskip(NEXT) | instid1(VALU_DEP_2)
	v_add_nc_u32_e32 v25, s0, v25
	v_add_co_u32 v26, vcc_lo, v24, s2
	s_wait_alu 0xfffd
	s_delay_alu instid0(VALU_DEP_2) | instskip(NEXT) | instid1(VALU_DEP_1)
	v_add_co_ci_u32_e32 v27, vcc_lo, s3, v25, vcc_lo
	v_mad_co_u64_u32 v[28:29], null, 0xffffea00, s4, v[26:27]
	s_delay_alu instid0(VALU_DEP_1) | instskip(NEXT) | instid1(VALU_DEP_2)
	v_add_nc_u32_e32 v29, s0, v29
	v_add_co_u32 v30, vcc_lo, v28, s2
	s_wait_alu 0xfffd
	s_delay_alu instid0(VALU_DEP_2)
	v_add_co_ci_u32_e32 v31, vcc_lo, s3, v29, vcc_lo
	s_clause 0x4
	global_store_b128 v[36:37], v[0:3], off
	global_store_b128 v[38:39], v[4:7], off
	;; [unrolled: 1-line block ×6, first 2 shown]
.LBB0_10:
	s_nop 0
	s_sendmsg sendmsg(MSG_DEALLOC_VGPRS)
	s_endpgm
	.section	.rodata,"a",@progbits
	.p2align	6, 0x0
	.amdhsa_kernel bluestein_single_back_len1056_dim1_dp_op_CI_CI
		.amdhsa_group_segment_fixed_size 16896
		.amdhsa_private_segment_fixed_size 112
		.amdhsa_kernarg_size 104
		.amdhsa_user_sgpr_count 2
		.amdhsa_user_sgpr_dispatch_ptr 0
		.amdhsa_user_sgpr_queue_ptr 0
		.amdhsa_user_sgpr_kernarg_segment_ptr 1
		.amdhsa_user_sgpr_dispatch_id 0
		.amdhsa_user_sgpr_private_segment_size 0
		.amdhsa_wavefront_size32 1
		.amdhsa_uses_dynamic_stack 0
		.amdhsa_enable_private_segment 1
		.amdhsa_system_sgpr_workgroup_id_x 1
		.amdhsa_system_sgpr_workgroup_id_y 0
		.amdhsa_system_sgpr_workgroup_id_z 0
		.amdhsa_system_sgpr_workgroup_info 0
		.amdhsa_system_vgpr_workitem_id 0
		.amdhsa_next_free_vgpr 256
		.amdhsa_next_free_sgpr 38
		.amdhsa_reserve_vcc 1
		.amdhsa_float_round_mode_32 0
		.amdhsa_float_round_mode_16_64 0
		.amdhsa_float_denorm_mode_32 3
		.amdhsa_float_denorm_mode_16_64 3
		.amdhsa_fp16_overflow 0
		.amdhsa_workgroup_processor_mode 1
		.amdhsa_memory_ordered 1
		.amdhsa_forward_progress 0
		.amdhsa_round_robin_scheduling 0
		.amdhsa_exception_fp_ieee_invalid_op 0
		.amdhsa_exception_fp_denorm_src 0
		.amdhsa_exception_fp_ieee_div_zero 0
		.amdhsa_exception_fp_ieee_overflow 0
		.amdhsa_exception_fp_ieee_underflow 0
		.amdhsa_exception_fp_ieee_inexact 0
		.amdhsa_exception_int_div_zero 0
	.end_amdhsa_kernel
	.text
.Lfunc_end0:
	.size	bluestein_single_back_len1056_dim1_dp_op_CI_CI, .Lfunc_end0-bluestein_single_back_len1056_dim1_dp_op_CI_CI
                                        ; -- End function
	.section	.AMDGPU.csdata,"",@progbits
; Kernel info:
; codeLenInByte = 11736
; NumSgprs: 40
; NumVgprs: 256
; ScratchSize: 112
; MemoryBound: 0
; FloatMode: 240
; IeeeMode: 1
; LDSByteSize: 16896 bytes/workgroup (compile time only)
; SGPRBlocks: 4
; VGPRBlocks: 31
; NumSGPRsForWavesPerEU: 40
; NumVGPRsForWavesPerEU: 256
; Occupancy: 5
; WaveLimiterHint : 1
; COMPUTE_PGM_RSRC2:SCRATCH_EN: 1
; COMPUTE_PGM_RSRC2:USER_SGPR: 2
; COMPUTE_PGM_RSRC2:TRAP_HANDLER: 0
; COMPUTE_PGM_RSRC2:TGID_X_EN: 1
; COMPUTE_PGM_RSRC2:TGID_Y_EN: 0
; COMPUTE_PGM_RSRC2:TGID_Z_EN: 0
; COMPUTE_PGM_RSRC2:TIDIG_COMP_CNT: 0
	.text
	.p2alignl 7, 3214868480
	.fill 96, 4, 3214868480
	.type	__hip_cuid_4d4d0ae779d897e3,@object ; @__hip_cuid_4d4d0ae779d897e3
	.section	.bss,"aw",@nobits
	.globl	__hip_cuid_4d4d0ae779d897e3
__hip_cuid_4d4d0ae779d897e3:
	.byte	0                               ; 0x0
	.size	__hip_cuid_4d4d0ae779d897e3, 1

	.ident	"AMD clang version 19.0.0git (https://github.com/RadeonOpenCompute/llvm-project roc-6.4.0 25133 c7fe45cf4b819c5991fe208aaa96edf142730f1d)"
	.section	".note.GNU-stack","",@progbits
	.addrsig
	.addrsig_sym __hip_cuid_4d4d0ae779d897e3
	.amdgpu_metadata
---
amdhsa.kernels:
  - .args:
      - .actual_access:  read_only
        .address_space:  global
        .offset:         0
        .size:           8
        .value_kind:     global_buffer
      - .actual_access:  read_only
        .address_space:  global
        .offset:         8
        .size:           8
        .value_kind:     global_buffer
      - .actual_access:  read_only
        .address_space:  global
        .offset:         16
        .size:           8
        .value_kind:     global_buffer
      - .actual_access:  read_only
        .address_space:  global
        .offset:         24
        .size:           8
        .value_kind:     global_buffer
      - .actual_access:  read_only
        .address_space:  global
        .offset:         32
        .size:           8
        .value_kind:     global_buffer
      - .offset:         40
        .size:           8
        .value_kind:     by_value
      - .address_space:  global
        .offset:         48
        .size:           8
        .value_kind:     global_buffer
      - .address_space:  global
        .offset:         56
        .size:           8
        .value_kind:     global_buffer
      - .address_space:  global
        .offset:         64
        .size:           8
        .value_kind:     global_buffer
      - .address_space:  global
        .offset:         72
        .size:           8
        .value_kind:     global_buffer
      - .offset:         80
        .size:           4
        .value_kind:     by_value
      - .address_space:  global
        .offset:         88
        .size:           8
        .value_kind:     global_buffer
      - .address_space:  global
        .offset:         96
        .size:           8
        .value_kind:     global_buffer
    .group_segment_fixed_size: 16896
    .kernarg_segment_align: 8
    .kernarg_segment_size: 104
    .language:       OpenCL C
    .language_version:
      - 2
      - 0
    .max_flat_workgroup_size: 176
    .name:           bluestein_single_back_len1056_dim1_dp_op_CI_CI
    .private_segment_fixed_size: 112
    .sgpr_count:     40
    .sgpr_spill_count: 0
    .symbol:         bluestein_single_back_len1056_dim1_dp_op_CI_CI.kd
    .uniform_work_group_size: 1
    .uses_dynamic_stack: false
    .vgpr_count:     256
    .vgpr_spill_count: 27
    .wavefront_size: 32
    .workgroup_processor_mode: 1
amdhsa.target:   amdgcn-amd-amdhsa--gfx1201
amdhsa.version:
  - 1
  - 2
...

	.end_amdgpu_metadata
